;; amdgpu-corpus repo=ROCm/flash-attention kind=compiled arch=gfx90a opt=O3
	.text
	.amdgcn_target "amdgcn-amd-amdhsa--gfx90a"
	.amdhsa_code_object_version 6
	.section	.text._ZN7ck_tileL11flush_cacheEv,"axG",@progbits,_ZN7ck_tileL11flush_cacheEv,comdat
	.globl	_ZN7ck_tileL11flush_cacheEv     ; -- Begin function _ZN7ck_tileL11flush_cacheEv
	.p2align	8
	.type	_ZN7ck_tileL11flush_cacheEv,@function
_ZN7ck_tileL11flush_cacheEv:            ; @_ZN7ck_tileL11flush_cacheEv
; %bb.0:
	;;#ASMSTART
	s_icache_inv 
	s_nop 0 
	s_nop 0 
	;; [unrolled: 1-line block ×16, first 2 shown]
	
	;;#ASMEND
	s_endpgm
	.section	.rodata,"a",@progbits
	.p2align	6, 0x0
	.amdhsa_kernel _ZN7ck_tileL11flush_cacheEv
		.amdhsa_group_segment_fixed_size 0
		.amdhsa_private_segment_fixed_size 0
		.amdhsa_kernarg_size 0
		.amdhsa_user_sgpr_count 4
		.amdhsa_user_sgpr_private_segment_buffer 1
		.amdhsa_user_sgpr_dispatch_ptr 0
		.amdhsa_user_sgpr_queue_ptr 0
		.amdhsa_user_sgpr_kernarg_segment_ptr 0
		.amdhsa_user_sgpr_dispatch_id 0
		.amdhsa_user_sgpr_flat_scratch_init 0
		.amdhsa_user_sgpr_kernarg_preload_length 0
		.amdhsa_user_sgpr_kernarg_preload_offset 0
		.amdhsa_user_sgpr_private_segment_size 0
		.amdhsa_uses_dynamic_stack 0
		.amdhsa_system_sgpr_private_segment_wavefront_offset 0
		.amdhsa_system_sgpr_workgroup_id_x 1
		.amdhsa_system_sgpr_workgroup_id_y 0
		.amdhsa_system_sgpr_workgroup_id_z 0
		.amdhsa_system_sgpr_workgroup_info 0
		.amdhsa_system_vgpr_workitem_id 0
		.amdhsa_next_free_vgpr 1
		.amdhsa_next_free_sgpr 0
		.amdhsa_accum_offset 4
		.amdhsa_reserve_vcc 0
		.amdhsa_reserve_flat_scratch 0
		.amdhsa_float_round_mode_32 0
		.amdhsa_float_round_mode_16_64 0
		.amdhsa_float_denorm_mode_32 0
		.amdhsa_float_denorm_mode_16_64 3
		.amdhsa_dx10_clamp 1
		.amdhsa_ieee_mode 1
		.amdhsa_fp16_overflow 0
		.amdhsa_tg_split 0
		.amdhsa_exception_fp_ieee_invalid_op 0
		.amdhsa_exception_fp_denorm_src 0
		.amdhsa_exception_fp_ieee_div_zero 0
		.amdhsa_exception_fp_ieee_overflow 0
		.amdhsa_exception_fp_ieee_underflow 0
		.amdhsa_exception_fp_ieee_inexact 0
		.amdhsa_exception_int_div_zero 0
	.end_amdhsa_kernel
	.section	.text._ZN7ck_tileL11flush_cacheEv,"axG",@progbits,_ZN7ck_tileL11flush_cacheEv,comdat
.Lfunc_end0:
	.size	_ZN7ck_tileL11flush_cacheEv, .Lfunc_end0-_ZN7ck_tileL11flush_cacheEv
                                        ; -- End function
	.section	.AMDGPU.csdata,"",@progbits
; Kernel info:
; codeLenInByte = 140
; NumSgprs: 4
; NumVgprs: 0
; NumAgprs: 0
; TotalNumVgprs: 0
; ScratchSize: 0
; MemoryBound: 0
; FloatMode: 192
; IeeeMode: 1
; LDSByteSize: 0 bytes/workgroup (compile time only)
; SGPRBlocks: 0
; VGPRBlocks: 0
; NumSGPRsForWavesPerEU: 4
; NumVGPRsForWavesPerEU: 1
; AccumOffset: 4
; Occupancy: 8
; WaveLimiterHint : 0
; COMPUTE_PGM_RSRC2:SCRATCH_EN: 0
; COMPUTE_PGM_RSRC2:USER_SGPR: 4
; COMPUTE_PGM_RSRC2:TRAP_HANDLER: 0
; COMPUTE_PGM_RSRC2:TGID_X_EN: 1
; COMPUTE_PGM_RSRC2:TGID_Y_EN: 0
; COMPUTE_PGM_RSRC2:TGID_Z_EN: 0
; COMPUTE_PGM_RSRC2:TIDIG_COMP_CNT: 0
; COMPUTE_PGM_RSRC3_GFX90A:ACCUM_OFFSET: 0
; COMPUTE_PGM_RSRC3_GFX90A:TG_SPLIT: 0
	.section	.text._ZN7ck_tile6kentryINS_6gfx9_tELi1ENS_19FmhaBwdDQDKDVKernelINS_26BlockFmhaBwdDQDKDVPipelineINS_27BlockFmhaBwdPipelineProblemIttttfffthttttttNS_16TileFmhaBwdShapeINS_8sequenceIJLi32ELi128ELi32ELi32ELi32ELi32ELi64ELi32ELi32EEEENS6_IJLi1ELi4ELi1EEEENS6_IJLi16ELi16ELi32EEEENS6_IJLi4ELi1ELi1EEEENS6_IJLi16ELi16ELi16EEEES8_S9_SA_SB_NS6_IJLi2ELi2ELi1EEEES9_Li0EEELb0ELb1ENS_30SimplifiedGenericAttentionMaskILb1EEENS_15BlockDropoutBwdILb1ELb0ELb0EEELb0ENS_17TileFmhaBwdTraitsILi0ELi0ELNS_22BlockAttentionBiasEnumE2ELb0ELi1EEEEEvEENS_17Default2DEpilogueINS_24Default2DEpilogueProblemIftLb0ELb0ELb1EEEvEESQ_SQ_EEJNSR_21FmhaBwdBatchModeKargsEEEENSt9enable_ifIXnt26kattr_no_packed_fp32_ops_vIT_EEvE4typeEDpT2_,"axG",@progbits,_ZN7ck_tile6kentryINS_6gfx9_tELi1ENS_19FmhaBwdDQDKDVKernelINS_26BlockFmhaBwdDQDKDVPipelineINS_27BlockFmhaBwdPipelineProblemIttttfffthttttttNS_16TileFmhaBwdShapeINS_8sequenceIJLi32ELi128ELi32ELi32ELi32ELi32ELi64ELi32ELi32EEEENS6_IJLi1ELi4ELi1EEEENS6_IJLi16ELi16ELi32EEEENS6_IJLi4ELi1ELi1EEEENS6_IJLi16ELi16ELi16EEEES8_S9_SA_SB_NS6_IJLi2ELi2ELi1EEEES9_Li0EEELb0ELb1ENS_30SimplifiedGenericAttentionMaskILb1EEENS_15BlockDropoutBwdILb1ELb0ELb0EEELb0ENS_17TileFmhaBwdTraitsILi0ELi0ELNS_22BlockAttentionBiasEnumE2ELb0ELi1EEEEEvEENS_17Default2DEpilogueINS_24Default2DEpilogueProblemIftLb0ELb0ELb1EEEvEESQ_SQ_EEJNSR_21FmhaBwdBatchModeKargsEEEENSt9enable_ifIXnt26kattr_no_packed_fp32_ops_vIT_EEvE4typeEDpT2_,comdat
	.protected	_ZN7ck_tile6kentryINS_6gfx9_tELi1ENS_19FmhaBwdDQDKDVKernelINS_26BlockFmhaBwdDQDKDVPipelineINS_27BlockFmhaBwdPipelineProblemIttttfffthttttttNS_16TileFmhaBwdShapeINS_8sequenceIJLi32ELi128ELi32ELi32ELi32ELi32ELi64ELi32ELi32EEEENS6_IJLi1ELi4ELi1EEEENS6_IJLi16ELi16ELi32EEEENS6_IJLi4ELi1ELi1EEEENS6_IJLi16ELi16ELi16EEEES8_S9_SA_SB_NS6_IJLi2ELi2ELi1EEEES9_Li0EEELb0ELb1ENS_30SimplifiedGenericAttentionMaskILb1EEENS_15BlockDropoutBwdILb1ELb0ELb0EEELb0ENS_17TileFmhaBwdTraitsILi0ELi0ELNS_22BlockAttentionBiasEnumE2ELb0ELi1EEEEEvEENS_17Default2DEpilogueINS_24Default2DEpilogueProblemIftLb0ELb0ELb1EEEvEESQ_SQ_EEJNSR_21FmhaBwdBatchModeKargsEEEENSt9enable_ifIXnt26kattr_no_packed_fp32_ops_vIT_EEvE4typeEDpT2_ ; -- Begin function _ZN7ck_tile6kentryINS_6gfx9_tELi1ENS_19FmhaBwdDQDKDVKernelINS_26BlockFmhaBwdDQDKDVPipelineINS_27BlockFmhaBwdPipelineProblemIttttfffthttttttNS_16TileFmhaBwdShapeINS_8sequenceIJLi32ELi128ELi32ELi32ELi32ELi32ELi64ELi32ELi32EEEENS6_IJLi1ELi4ELi1EEEENS6_IJLi16ELi16ELi32EEEENS6_IJLi4ELi1ELi1EEEENS6_IJLi16ELi16ELi16EEEES8_S9_SA_SB_NS6_IJLi2ELi2ELi1EEEES9_Li0EEELb0ELb1ENS_30SimplifiedGenericAttentionMaskILb1EEENS_15BlockDropoutBwdILb1ELb0ELb0EEELb0ENS_17TileFmhaBwdTraitsILi0ELi0ELNS_22BlockAttentionBiasEnumE2ELb0ELi1EEEEEvEENS_17Default2DEpilogueINS_24Default2DEpilogueProblemIftLb0ELb0ELb1EEEvEESQ_SQ_EEJNSR_21FmhaBwdBatchModeKargsEEEENSt9enable_ifIXnt26kattr_no_packed_fp32_ops_vIT_EEvE4typeEDpT2_
	.globl	_ZN7ck_tile6kentryINS_6gfx9_tELi1ENS_19FmhaBwdDQDKDVKernelINS_26BlockFmhaBwdDQDKDVPipelineINS_27BlockFmhaBwdPipelineProblemIttttfffthttttttNS_16TileFmhaBwdShapeINS_8sequenceIJLi32ELi128ELi32ELi32ELi32ELi32ELi64ELi32ELi32EEEENS6_IJLi1ELi4ELi1EEEENS6_IJLi16ELi16ELi32EEEENS6_IJLi4ELi1ELi1EEEENS6_IJLi16ELi16ELi16EEEES8_S9_SA_SB_NS6_IJLi2ELi2ELi1EEEES9_Li0EEELb0ELb1ENS_30SimplifiedGenericAttentionMaskILb1EEENS_15BlockDropoutBwdILb1ELb0ELb0EEELb0ENS_17TileFmhaBwdTraitsILi0ELi0ELNS_22BlockAttentionBiasEnumE2ELb0ELi1EEEEEvEENS_17Default2DEpilogueINS_24Default2DEpilogueProblemIftLb0ELb0ELb1EEEvEESQ_SQ_EEJNSR_21FmhaBwdBatchModeKargsEEEENSt9enable_ifIXnt26kattr_no_packed_fp32_ops_vIT_EEvE4typeEDpT2_
	.p2align	8
	.type	_ZN7ck_tile6kentryINS_6gfx9_tELi1ENS_19FmhaBwdDQDKDVKernelINS_26BlockFmhaBwdDQDKDVPipelineINS_27BlockFmhaBwdPipelineProblemIttttfffthttttttNS_16TileFmhaBwdShapeINS_8sequenceIJLi32ELi128ELi32ELi32ELi32ELi32ELi64ELi32ELi32EEEENS6_IJLi1ELi4ELi1EEEENS6_IJLi16ELi16ELi32EEEENS6_IJLi4ELi1ELi1EEEENS6_IJLi16ELi16ELi16EEEES8_S9_SA_SB_NS6_IJLi2ELi2ELi1EEEES9_Li0EEELb0ELb1ENS_30SimplifiedGenericAttentionMaskILb1EEENS_15BlockDropoutBwdILb1ELb0ELb0EEELb0ENS_17TileFmhaBwdTraitsILi0ELi0ELNS_22BlockAttentionBiasEnumE2ELb0ELi1EEEEEvEENS_17Default2DEpilogueINS_24Default2DEpilogueProblemIftLb0ELb0ELb1EEEvEESQ_SQ_EEJNSR_21FmhaBwdBatchModeKargsEEEENSt9enable_ifIXnt26kattr_no_packed_fp32_ops_vIT_EEvE4typeEDpT2_,@function
_ZN7ck_tile6kentryINS_6gfx9_tELi1ENS_19FmhaBwdDQDKDVKernelINS_26BlockFmhaBwdDQDKDVPipelineINS_27BlockFmhaBwdPipelineProblemIttttfffthttttttNS_16TileFmhaBwdShapeINS_8sequenceIJLi32ELi128ELi32ELi32ELi32ELi32ELi64ELi32ELi32EEEENS6_IJLi1ELi4ELi1EEEENS6_IJLi16ELi16ELi32EEEENS6_IJLi4ELi1ELi1EEEENS6_IJLi16ELi16ELi16EEEES8_S9_SA_SB_NS6_IJLi2ELi2ELi1EEEES9_Li0EEELb0ELb1ENS_30SimplifiedGenericAttentionMaskILb1EEENS_15BlockDropoutBwdILb1ELb0ELb0EEELb0ENS_17TileFmhaBwdTraitsILi0ELi0ELNS_22BlockAttentionBiasEnumE2ELb0ELi1EEEEEvEENS_17Default2DEpilogueINS_24Default2DEpilogueProblemIftLb0ELb0ELb1EEEvEESQ_SQ_EEJNSR_21FmhaBwdBatchModeKargsEEEENSt9enable_ifIXnt26kattr_no_packed_fp32_ops_vIT_EEvE4typeEDpT2_: ; @_ZN7ck_tile6kentryINS_6gfx9_tELi1ENS_19FmhaBwdDQDKDVKernelINS_26BlockFmhaBwdDQDKDVPipelineINS_27BlockFmhaBwdPipelineProblemIttttfffthttttttNS_16TileFmhaBwdShapeINS_8sequenceIJLi32ELi128ELi32ELi32ELi32ELi32ELi64ELi32ELi32EEEENS6_IJLi1ELi4ELi1EEEENS6_IJLi16ELi16ELi32EEEENS6_IJLi4ELi1ELi1EEEENS6_IJLi16ELi16ELi16EEEES8_S9_SA_SB_NS6_IJLi2ELi2ELi1EEEES9_Li0EEELb0ELb1ENS_30SimplifiedGenericAttentionMaskILb1EEENS_15BlockDropoutBwdILb1ELb0ELb0EEELb0ENS_17TileFmhaBwdTraitsILi0ELi0ELNS_22BlockAttentionBiasEnumE2ELb0ELi1EEEEEvEENS_17Default2DEpilogueINS_24Default2DEpilogueProblemIftLb0ELb0ELb1EEEvEESQ_SQ_EEJNSR_21FmhaBwdBatchModeKargsEEEENSt9enable_ifIXnt26kattr_no_packed_fp32_ops_vIT_EEvE4typeEDpT2_
; %bb.0:
	s_load_dword s0, s[4:5], 0x140
	s_load_dwordx2 s[34:35], s[4:5], 0x48
	s_load_dwordx2 s[28:29], s[4:5], 0x58
	s_load_dword s2, s[4:5], 0x108
	s_load_dword s7, s[4:5], 0x130
	s_waitcnt lgkmcnt(0)
	s_lshr_b32 s0, s0, 16
	s_cmp_lg_u32 s0, 0
	s_cselect_b64 s[0:1], -1, 0
	s_cmp_lg_u64 s[0:1], 0
	s_addc_u32 s8, s7, 0
	s_add_i32 s3, s35, 0x7f
	s_ashr_i32 s9, s3, 31
	s_lshr_b32 s9, s9, 25
	s_add_i32 s3, s3, s9
	s_ashr_i32 s66, s3, 7
	s_mul_i32 s3, s66, s28
	s_mul_i32 s3, s3, s2
	s_cmp_lg_u64 s[0:1], 0
	s_addc_u32 s0, s3, s7
	s_abs_i32 s1, s8
	v_cvt_f32_u32_e32 v1, s1
	s_add_i32 s0, s0, -1
	s_xor_b32 s2, s0, s8
	s_sub_i32 s7, 0, s1
	v_rcp_iflag_f32_e32 v1, v1
	s_abs_i32 s0, s0
	s_ashr_i32 s2, s2, 31
	v_mul_f32_e32 v1, 0x4f7ffffe, v1
	v_cvt_u32_f32_e32 v1, v1
	v_readfirstlane_b32 s8, v1
	s_mul_i32 s7, s7, s8
	s_mul_hi_u32 s7, s8, s7
	s_add_i32 s8, s8, s7
	s_mul_hi_u32 s7, s0, s8
	s_mul_i32 s8, s7, s1
	s_sub_i32 s0, s0, s8
	s_add_i32 s8, s7, 1
	s_sub_i32 s9, s0, s1
	s_cmp_ge_u32 s0, s1
	s_cselect_b32 s7, s8, s7
	s_cselect_b32 s0, s9, s0
	s_add_i32 s8, s7, 1
	s_cmp_ge_u32 s0, s1
	s_cselect_b32 s0, s8, s7
	s_xor_b32 s0, s0, s2
	s_sub_i32 s2, s0, s2
	s_mul_i32 s27, s2, s6
	s_cmp_ge_i32 s27, s3
	s_cbranch_scc1 .LBB1_25
; %bb.1:
	v_lshrrev_b32_e32 v65, 6, v0
	v_mbcnt_lo_u32_b32 v0, -1, 0
	v_mbcnt_hi_u32_b32 v0, -1, v0
	v_lshrrev_b32_e32 v117, 4, v0
	v_lshlrev_b32_e32 v2, 3, v117
	v_lshrrev_b32_e32 v67, 2, v0
	v_lshrrev_b32_e32 v3, 6, v0
	v_and_b32_e32 v4, 24, v2
	v_and_b32_e32 v121, 7, v0
	v_lshrrev_b16_e32 v5, 2, v4
	v_and_b32_e32 v6, 1, v0
	v_lshl_or_b32 v123, v3, 3, v121
	v_and_b32_e32 v9, 2, v67
	v_add_u32_e32 v12, 32, v2
	v_lshrrev_b16_e32 v15, 4, v2
	s_load_dwordx8 s[72:79], s[4:5], 0xb8
	v_or_b32_e32 v114, v6, v5
	v_lshrrev_b16_e32 v5, 4, v4
	v_lshl_or_b32 v9, v123, 6, v9
	v_lshrrev_b32_e32 v13, 5, v12
	v_and_b32_e32 v15, 1, v15
	v_lshl_add_u32 v116, v5, 11, v9
	v_sub_u32_e32 v14, v13, v3
	v_sub_u16_e32 v5, v15, v5
	v_bfe_i32 v5, v5, 0, 16
	v_lshlrev_b32_e32 v14, 9, v14
	s_sub_i32 s9, s34, s35
	s_load_dwordx8 s[44:51], s[4:5], 0x64
	s_load_dword s10, s[4:5], 0xb0
	v_lshrrev_b32_e32 v16, 2, v12
	v_lshl_add_u32 v130, v5, 11, v14
	v_add_u32_e32 v5, 34, v2
	s_add_i32 s6, s35, -1
	s_sub_i32 s8, s35, s34
	s_add_i32 s1, s34, -1
	s_add_i32 s0, s9, 1
	v_and_or_b32 v129, v16, 8, v121
	v_lshrrev_b16_e32 v16, 4, v5
	s_waitcnt lgkmcnt(0)
	s_cmp_eq_u32 s74, 1
	v_lshrrev_b32_e32 v14, 5, v5
	v_and_b32_e32 v16, 1, v16
	s_cselect_b32 s7, 1, s0
	s_cselect_b32 s0, s1, s6
	s_add_i32 s11, s8, 1
	v_sub_u32_e32 v13, v14, v13
	v_sub_u16_e32 v17, v16, v15
	v_and_b32_e32 v131, 10, v5
	v_lshrrev_b32_e32 v5, 2, v5
	s_cmp_eq_u32 s74, 1
                                        ; implicit-def: $vgpr254 : SGPR spill to VGPR lane
	v_bfe_i32 v17, v17, 0, 16
	v_and_or_b32 v132, v5, 8, v121
	v_lshlrev_b32_e32 v5, 9, v13
	v_writelane_b32 v254, s10, 0
	s_cselect_b32 s10, s6, s1
	s_cselect_b32 s11, 1, s11
	s_abs_i32 s53, s66
	v_lshl_add_u32 v133, v17, 11, v5
	v_add_u32_e32 v5, 36, v2
	v_cvt_f32_u32_e32 v1, s53
	v_lshrrev_b16_e32 v17, 4, v5
	v_lshrrev_b32_e32 v13, 5, v5
	v_and_b32_e32 v17, 1, v17
	v_sub_u32_e32 v14, v13, v14
	v_sub_u16_e32 v16, v17, v16
	v_and_b32_e32 v134, 12, v5
	v_lshrrev_b32_e32 v5, 2, v5
	v_bfe_i32 v16, v16, 0, 16
	v_and_or_b32 v135, v5, 8, v121
	v_lshlrev_b32_e32 v5, 9, v14
	v_rcp_iflag_f32_e32 v1, v1
	v_lshl_add_u32 v136, v16, 11, v5
	v_add_u32_e32 v5, 38, v2
	v_lshrrev_b16_e32 v16, 4, v5
	v_lshrrev_b32_e32 v14, 5, v5
	v_and_b32_e32 v16, 1, v16
	v_sub_u32_e32 v13, v14, v13
	v_sub_u16_e32 v17, v16, v17
	v_lshrrev_b16_e32 v18, 1, v5
	v_lshrrev_b32_e32 v5, 2, v5
	v_mul_f32_e32 v1, 0x4f7ffffe, v1
	v_bfe_i32 v17, v17, 0, 16
	v_and_or_b32 v138, v5, 8, v121
	v_lshlrev_b32_e32 v5, 9, v13
	v_cvt_u32_f32_e32 v1, v1
	v_lshl_add_u32 v139, v17, 11, v5
	v_or_b32_e32 v5, 64, v2
	v_lshrrev_b32_e32 v13, 5, v5
	v_sub_u32_e32 v14, v13, v14
	v_sub_u16_e32 v16, v15, v16
	v_lshrrev_b16_e32 v7, 1, v2
	v_bfe_i32 v16, v16, 0, 16
	v_lshlrev_b32_e32 v14, 9, v14
	s_sub_i32 s14, 0, s53
	v_readfirstlane_b32 s15, v1
	v_and_b32_e32 v7, 4, v7
	v_and_b32_e32 v18, 7, v18
	v_lshl_add_u32 v141, v16, 11, v14
	v_or_b32_e32 v14, 0x42, v2
	s_mul_i32 s14, s14, s15
	v_sub_u16_e32 v18, v18, v7
	v_lshrrev_b16_e32 v17, 4, v14
	s_add_i32 s13, s27, s2
	s_mul_hi_u32 s14, s15, s14
	v_and_b32_e32 v8, 0xffff, v7
	v_bfe_i32 v18, v18, 0, 16
	v_lshrrev_b32_e32 v16, 5, v14
	v_and_b32_e32 v17, 1, v17
	v_lshrrev_b16_e32 v14, 1, v14
	s_min_i32 s26, s13, s3
	s_abs_i32 s13, s27
	s_add_i32 s14, s15, s14
	v_add_lshl_u32 v137, v18, v8, 1
	v_sub_u32_e32 v13, v16, v13
	v_sub_u16_e32 v18, v17, v15
	v_and_b32_e32 v14, 5, v14
	v_writelane_b32 v254, s14, 1
	s_mul_hi_u32 s14, s13, s14
	v_bfe_i32 v18, v18, 0, 16
	v_sub_u16_e32 v19, v14, v7
	v_lshlrev_b32_e32 v13, 9, v13
	s_mul_i32 s14, s14, s53
	v_lshlrev_b32_e32 v115, 1, v8
	v_add_u32_sdwa v8, sext(v19), v8 dst_sel:DWORD dst_unused:UNUSED_PAD src0_sel:WORD_0 src1_sel:DWORD
	v_lshl_or_b32 v19, v16, 3, v121
	v_lshl_add_u32 v145, v18, 11, v13
	v_or_b32_e32 v13, 0x44, v2
	s_sub_i32 s13, s13, s14
	v_and_b32_e32 v143, 15, v19
	v_lshrrev_b32_e32 v18, 5, v13
	v_lshrrev_b16_e32 v19, 4, v13
	v_lshrrev_b16_e32 v13, 1, v13
	s_ashr_i32 s3, s27, 31
	s_sub_i32 s14, s13, s53
	v_and_b32_e32 v13, 6, v13
	s_cmp_ge_u32 s13, s53
	v_and_b32_e32 v19, 1, v19
	v_sub_u16_e32 v14, v13, v14
	s_cselect_b32 s13, s14, s13
	v_lshlrev_b32_e32 v142, 1, v8
	v_sub_u32_e32 v16, v18, v16
	v_sub_u16_e32 v17, v19, v17
	v_add_u32_sdwa v8, v8, sext(v14) dst_sel:DWORD dst_unused:UNUSED_PAD src0_sel:DWORD src1_sel:WORD_0
	v_lshl_or_b32 v14, v18, 3, v121
	s_sub_i32 s14, s13, s53
	v_bfe_i32 v17, v17, 0, 16
	v_and_b32_e32 v151, 15, v14
	v_lshlrev_b32_e32 v14, 9, v16
	s_cmp_ge_u32 s13, s53
	v_lshl_add_u32 v152, v17, 11, v14
	v_or_b32_e32 v14, 0x46, v2
	s_cselect_b32 s13, s14, s13
	s_abs_i32 s14, s2
	v_lshrrev_b32_e32 v16, 5, v14
	v_cvt_f32_u32_e32 v1, s14
	v_sub_u32_e32 v17, v16, v18
	v_lshrrev_b16_e32 v18, 4, v14
	v_lshrrev_b16_e32 v14, 1, v14
	v_and_b32_e32 v14, 7, v14
	v_and_b32_e32 v18, 1, v18
	v_sub_u16_e32 v13, v14, v13
	v_lshlrev_b32_e32 v146, 1, v8
	v_sub_u16_e32 v19, v18, v19
	v_add_u32_sdwa v8, v8, sext(v13) dst_sel:DWORD dst_unused:UNUSED_PAD src0_sel:DWORD src1_sel:WORD_0
	v_lshl_or_b32 v13, v16, 3, v121
	v_rcp_iflag_f32_e32 v1, v1
	v_bfe_i32 v19, v19, 0, 16
	v_and_b32_e32 v154, 15, v13
	v_lshlrev_b32_e32 v13, 9, v17
	v_lshl_add_u32 v155, v19, 11, v13
	v_add_u32_e32 v13, 0x60, v2
	v_lshrrev_b32_e32 v17, 5, v13
	v_sub_u16_e32 v14, v7, v14
	v_lshlrev_b32_e32 v153, 1, v8
	v_sub_u32_e32 v16, v17, v16
	v_sub_u16_e32 v18, v15, v18
	v_add_u32_sdwa v8, v8, sext(v14) dst_sel:DWORD dst_unused:UNUSED_PAD src0_sel:DWORD src1_sel:WORD_0
	v_lshl_or_b32 v14, v17, 3, v121
	s_load_dword s30, s[4:5], 0x11c
	s_load_dwordx4 s[20:23], s[4:5], 0x10c
	s_load_dword s57, s[4:5], 0x104
	s_load_dwordx4 s[36:39], s[4:5], 0x84
	s_load_dword s15, s[4:5], 0x94
	v_mul_f32_e32 v1, 0x4f7ffffe, v1
	v_bfe_i32 v18, v18, 0, 16
	v_and_b32_e32 v157, 15, v14
	v_lshlrev_b32_e32 v14, 9, v16
	v_cvt_u32_f32_e32 v1, v1
	v_lshl_add_u32 v158, v18, 11, v14
	v_add_u32_e32 v14, 0x62, v2
	v_lshrrev_b32_e32 v16, 5, v14
	v_lshrrev_b16_e32 v18, 4, v14
	v_lshrrev_b16_e32 v14, 1, v14
	v_and_b32_e32 v14, 5, v14
	s_xor_b32 s13, s13, s3
	v_lshlrev_b16_e32 v127, 1, v7
	v_and_b32_e32 v18, 1, v18
	v_sub_u16_e32 v7, v14, v7
	s_waitcnt lgkmcnt(0)
	v_writelane_b32 v254, s15, 2
	s_sub_i32 s3, s13, s3
	s_sub_i32 s13, 0, s14
	v_readfirstlane_b32 s15, v1
	v_lshlrev_b32_e32 v156, 1, v8
	v_sub_u32_e32 v17, v16, v17
	v_sub_u16_e32 v15, v18, v15
	v_add_u32_sdwa v7, v8, sext(v7) dst_sel:DWORD dst_unused:UNUSED_PAD src0_sel:DWORD src1_sel:WORD_0
	v_lshl_or_b32 v8, v16, 3, v121
	s_add_i32 s3, s2, s3
	s_mul_i32 s13, s13, s15
	v_bfe_i32 v15, v15, 0, 16
	v_and_b32_e32 v160, 15, v8
	v_lshlrev_b32_e32 v8, 9, v17
	s_add_i32 s3, s3, -1
	s_mul_hi_u32 s13, s15, s13
	v_lshl_add_u32 v161, v15, 11, v8
	v_add_u32_e32 v8, 0x64, v2
	s_xor_b32 s2, s3, s2
	s_abs_i32 s3, s3
	s_add_i32 s15, s15, s13
	v_lshrrev_b32_e32 v15, 5, v8
	v_lshrrev_b16_e32 v17, 4, v8
	v_lshrrev_b16_e32 v8, 1, v8
	s_mul_hi_u32 s13, s3, s15
	v_and_b32_e32 v8, 6, v8
	s_mul_i32 s15, s13, s14
	v_and_b32_e32 v17, 1, v17
	v_sub_u16_e32 v14, v8, v14
	s_sub_i32 s3, s3, s15
	v_lshlrev_b32_e32 v159, 1, v7
	v_sub_u32_e32 v16, v15, v16
	v_sub_u16_e32 v18, v17, v18
	v_add_u32_sdwa v7, v7, sext(v14) dst_sel:DWORD dst_unused:UNUSED_PAD src0_sel:DWORD src1_sel:WORD_0
	v_lshl_or_b32 v14, v15, 3, v121
	s_ashr_i32 s2, s2, 31
	s_add_i32 s15, s13, 1
	s_sub_i32 s16, s3, s14
	v_bfe_i32 v18, v18, 0, 16
	v_and_b32_e32 v163, 15, v14
	v_lshlrev_b32_e32 v14, 9, v16
	v_add_u32_e32 v2, 0x66, v2
	s_cmp_ge_u32 s3, s14
	v_lshl_add_u32 v164, v18, 11, v14
	v_lshrrev_b32_e32 v14, 5, v2
	v_lshrrev_b16_e32 v16, 4, v2
	v_lshrrev_b16_e32 v2, 1, v2
	s_cselect_b32 s13, s15, s13
	v_and_b32_e32 v2, 7, v2
	s_cselect_b32 s3, s16, s3
	s_add_i32 s15, s13, 1
	v_sub_u16_e32 v2, v2, v8
	s_cmp_ge_u32 s3, s14
	v_bfe_i32 v2, v2, 0, 16
	s_cselect_b32 s3, s15, s13
	v_and_b32_e32 v16, 1, v16
	v_add_lshl_u32 v165, v7, v2, 1
	v_lshl_or_b32 v2, v14, 3, v121
	s_xor_b32 s3, s3, s2
	v_lshlrev_b32_e32 v1, 3, v0
	v_lshrrev_b32_e32 v9, 1, v0
	v_sub_u16_e32 v16, v16, v17
	v_and_b32_e32 v166, 15, v2
	v_mov_b32_e32 v2, 12
	s_sub_i32 s31, s3, s2
	s_mov_b32 s2, s21
	v_and_b32_e32 v64, 24, v1
	v_and_b32_e32 v119, 62, v9
	v_bfe_u32 v120, v1, 4, 1
	v_lshlrev_b32_e32 v1, 1, v0
	v_or_b32_e32 v9, 2, v4
	v_sub_u32_e32 v15, v14, v15
	v_lshlrev_b32_sdwa v2, v2, sext(v16) dst_sel:DWORD dst_unused:UNUSED_PAD src0_sel:DWORD src1_sel:WORD_0
	v_writelane_b32 v254, s2, 3
	v_and_b32_e32 v128, 2, v1
	v_lshl_add_u32 v167, v15, 10, v2
	v_lshrrev_b16_e32 v2, 1, v4
	v_and_b32_e32 v174, 30, v1
	v_bfe_u32 v176, v1, 2, 3
	v_lshrrev_b16_e32 v1, 1, v9
	v_writelane_b32 v254, s20, 4
	v_and_b32_e32 v122, 10, v9
	v_or_b32_e32 v10, 4, v4
	v_sub_u32_e32 v9, v1, v2
	v_writelane_b32 v254, s21, 5
	v_lshlrev_b32_e32 v178, 1, v9
	v_lshrrev_b16_e32 v9, 1, v10
	v_writelane_b32 v254, s22, 6
	v_or_b32_e32 v11, 6, v4
	v_sub_u32_e32 v1, v9, v1
	v_writelane_b32 v254, s23, 7
	s_mov_b32 s13, s23
	v_lshlrev_b32_e32 v162, 1, v7
	v_lshrrev_b32_e32 v7, 5, v0
	v_lshlrev_b32_e32 v179, 1, v1
	v_lshrrev_b16_e32 v1, 1, v11
	v_writelane_b32 v254, s13, 8
	s_mov_b32 s13, s37
	v_lshlrev_b32_e32 v113, 12, v3
	v_lshlrev_b32_e32 v169, 10, v3
	v_bfe_u32 v3, v0, 2, 2
	v_lshl_or_b32 v6, v7, 1, v6
	v_sub_u32_e32 v9, v1, v9
	v_sub_u32_e32 v1, v2, v1
	v_writelane_b32 v254, s13, 9
	s_mov_b32 s16, s36
	s_mov_b32 s18, s38
	v_and_b32_e32 v4, 2, v0
	v_bfe_u32 v171, v0, 4, 1
	v_xor_b32_e32 v14, v6, v3
	v_lshlrev_b32_e32 v181, 1, v1
	v_or_b32_e32 v1, 8, v3
	s_load_dwordx2 s[2:3], s[4:5], 0x50
	s_load_dwordx2 s[14:15], s[4:5], 0x40
	v_writelane_b32 v254, s16, 10
	v_lshlrev_b32_e32 v168, 1, v2
	v_lshlrev_b32_e32 v8, 6, v6
	v_lshl_or_b32 v4, v171, 9, v4
	v_lshlrev_b32_e32 v15, 2, v14
	v_xor_b32_e32 v2, v6, v1
	v_writelane_b32 v254, s17, 11
	v_lshlrev_b32_e32 v170, 2, v117
	v_or3_b32 v4, v4, v8, v15
	v_lshlrev_b32_e32 v180, 1, v9
	v_sub_u32_e32 v9, v2, v14
	v_writelane_b32 v254, s18, 12
	v_lshlrev_b32_e32 v182, 1, v4
	v_lshl_add_u32 v4, v9, 2, v4
	v_add_u32_e32 v9, 16, v170
	v_writelane_b32 v254, s19, 13
	s_mov_b32 s13, s39
	v_lshrrev_b32_e32 v9, 3, v9
	v_writelane_b32 v254, s13, 14
	v_and_b32_e32 v124, 12, v10
	v_sub_u32_e32 v10, v9, v7
	s_waitcnt lgkmcnt(0)
	v_writelane_b32 v254, s14, 15
	v_lshl_add_u32 v6, v10, 1, v6
	v_writelane_b32 v254, s15, 16
	s_add_u32 s15, 0, 0
	v_and_b32_e32 v125, 14, v11
	v_ashrrev_i32_e32 v11, 31, v6
	s_addc_u32 s16, s3, -1
	v_lshrrev_b32_e32 v11, 28, v11
	s_mul_i32 s13, s47, s6
	s_add_i32 s16, s16, 1
	v_add_u32_e32 v11, v6, v11
	s_add_i32 s13, s13, s16
	v_and_b32_e32 v11, -16, v11
	s_add_u32 s15, 0, 0
	v_sub_u32_e32 v11, v6, v11
	s_addc_u32 s15, s2, -1
	v_xor_b32_e32 v14, v11, v3
	s_mul_i32 s17, s45, s1
	s_mul_i32 s18, s48, s1
	;; [unrolled: 1-line block ×3, first 2 shown]
	s_add_i32 s15, s15, 1
	v_sub_u32_e32 v2, v14, v2
	s_add_i32 s14, s1, s15
	v_lshlrev_b32_e32 v10, 7, v10
	v_lshlrev_b32_e32 v2, 2, v2
	s_cmp_eq_u32 s73, 0
	v_lshrrev_b32_e32 v15, 3, v0
	v_lshlrev_b32_e32 v183, 1, v4
	v_add3_u32 v2, v4, v10, v2
	v_add_u32_e32 v4, 18, v170
	s_cselect_b64 s[20:21], -1, 0
	s_cmp_lt_i32 s72, 0
	v_and_b32_e32 v175, 14, v15
	v_lshrrev_b32_e32 v15, 3, v4
	s_cselect_b64 s[22:23], -1, 0
	v_sub_u32_e32 v9, v15, v9
	s_and_b64 s[24:25], s[22:23], exec
	v_lshl_add_u32 v6, v9, 1, v6
	s_cselect_b32 s24, s0, s72
	s_and_b64 s[0:1], s[20:21], s[22:23]
	v_ashrrev_i32_e32 v17, 31, v6
	s_load_dwordx4 s[68:71], s[4:5], 0x120
	s_load_dword s12, s[4:5], 0xd8
	s_and_b64 s[0:1], s[0:1], exec
	v_lshrrev_b32_e32 v17, 28, v17
	s_cselect_b32 s20, 0, s74
	v_add_u32_e32 v17, v6, v17
	s_cmp_eq_u32 s20, 0
	v_and_b32_e32 v17, -16, v17
	v_sub_u32_e32 v7, v7, v15
	s_cselect_b64 s[0:1], -1, 0
	s_max_i32 s8, s8, 0
	s_max_i32 s9, s9, 0
	v_sub_u32_e32 v17, v6, v17
	v_lshl_add_u32 v6, v7, 1, v6
	s_cmp_eq_u32 s20, 2
	v_ashrrev_i32_e32 v15, 31, v6
	s_cselect_b32 s20, s8, 0
	s_cselect_b32 s21, s9, 0
	s_waitcnt lgkmcnt(0)
	s_bitcmp1_b32 s12, 0
	v_bfe_u32 v4, v4, 2, 1
	v_xor_b32_e32 v1, v17, v1
	v_lshrrev_b32_e32 v15, 28, v15
	s_cselect_b64 s[8:9], -1, 0
	v_sub_u32_e32 v16, v4, v171
	v_sub_u32_e32 v14, v1, v14
	v_lshlrev_b32_e32 v9, 7, v9
	v_add_u32_e32 v15, v6, v15
	s_xor_b64 s[8:9], s[8:9], -1
	v_lshlrev_b32_e32 v14, 2, v14
	v_lshl_add_u32 v9, v16, 9, v9
	v_and_b32_e32 v15, -16, v15
	v_writelane_b32 v254, s8, 17
	s_cmp_lt_i32 s73, 0
	v_lshlrev_b32_e32 v184, 1, v2
	v_add3_u32 v2, v14, v9, v2
	v_or_b32_e32 v14, 4, v3
	v_sub_u32_e32 v6, v6, v15
	v_writelane_b32 v254, s9, 18
	s_cselect_b32 s41, s10, s73
	s_add_i32 s10, s24, s7
	s_add_i32 s7, s66, -1
	v_xor_b32_e32 v15, v6, v14
	v_writelane_b32 v254, s7, 19
	s_lshl_b32 s8, s47, 7
	v_sub_u32_e32 v4, v171, v4
	v_sub_u32_e32 v1, v15, v1
	v_lshlrev_b32_e32 v7, 7, v7
	v_writelane_b32 v254, s8, 20
	v_lshlrev_b32_e32 v1, 2, v1
	v_lshl_add_u32 v4, v4, 9, v7
	s_load_dwordx4 s[60:63], s[4:5], 0x98
	s_load_dwordx2 s[8:9], s[4:5], 0xa8
	v_lshlrev_b32_e32 v185, 1, v2
	v_add3_u32 v1, v4, v1, v2
	v_or_b32_e32 v2, 12, v3
	v_xor_b32_e32 v3, v6, v2
	v_sub_u32_e32 v4, v3, v15
	v_lshlrev_b32_e32 v186, 1, v1
	v_lshl_add_u32 v1, v4, 2, v1
	v_xor_b32_e32 v4, v11, v14
	v_sub_u32_e32 v3, v4, v3
	v_xor_b32_e32 v2, v17, v2
	s_waitcnt lgkmcnt(0)
	v_writelane_b32 v254, s8, 21
	v_lshlrev_b32_e32 v3, 2, v3
	v_sub_u32_e32 v2, v2, v4
	v_writelane_b32 v254, s9, 22
	v_lshlrev_b32_e32 v187, 1, v1
	v_add3_u32 v1, v3, v10, v1
	v_lshl_add_u32 v2, v2, 2, v9
	v_writelane_b32 v254, s60, 23
	v_lshlrev_b32_e32 v188, 1, v1
	v_add_lshl_u32 v189, v2, v1, 1
	v_lshrrev_b32_e32 v1, 3, v12
	v_writelane_b32 v254, s61, 24
	v_xor_b32_e32 v8, v117, v0
	v_lshrrev_b32_e32 v2, 3, v5
	v_xor_b32_e32 v1, v1, v0
	v_writelane_b32 v254, s62, 25
	v_and_b32_e32 v8, 15, v8
	v_and_b32_e32 v1, 15, v1
	v_xor_b32_e32 v2, v2, v0
	v_writelane_b32 v254, s63, 26
	s_mov_b32 s8, s63
	v_and_b32_e32 v2, 15, v2
	v_sub_u32_e32 v1, v1, v8
	v_writelane_b32 v254, s8, 27
	s_mov_b32 s8, s71
	v_lshlrev_b32_e32 v198, 4, v1
	v_sub_u32_e32 v1, v2, v8
	v_writelane_b32 v254, s8, 28
	s_abs_i32 s8, s28
	v_lshlrev_b32_e32 v199, 3, v1
	v_cvt_f32_u32_e32 v1, s8
	v_lshrrev_b32_e32 v3, 3, v13
	v_and_b32_e32 v118, 15, v0
	v_and_b32_e32 v173, 31, v0
	;; [unrolled: 1-line block ×3, first 2 shown]
	v_xor_b32_e32 v0, v3, v0
	s_add_i32 s41, s41, s11
	v_and_b32_e32 v0, 15, v0
	v_rcp_iflag_f32_e32 v1, v1
	s_abs_i32 s11, s29
	v_sub_u32_e32 v0, v0, v2
	v_sub_u32_e32 v4, v8, v2
	v_cvt_f32_u32_e32 v2, s11
	s_lshl_b32 s9, s50, 7
	v_mul_f32_e32 v1, 0x4f7ffffe, v1
	v_writelane_b32 v254, s9, 29
	s_lshl_b32 s9, s51, 7
	v_cvt_u32_f32_e32 v1, v1
	v_rcp_iflag_f32_e32 v2, v2
	v_writelane_b32 v254, s9, 30
	v_writelane_b32 v254, s21, 31
	s_ashr_i32 s9, s66, 31
	v_writelane_b32 v254, s9, 32
	s_ashr_i32 s9, s28, 31
	v_writelane_b32 v254, s9, 33
	v_readfirstlane_b32 s9, v1
	v_mul_f32_e32 v1, 0x4f7ffffe, v2
	v_writelane_b32 v254, s8, 34
	s_sub_i32 s8, 0, s8
	v_cvt_u32_f32_e32 v1, v1
	s_mul_i32 s8, s8, s9
	s_mul_hi_u32 s8, s9, s8
	s_add_i32 s8, s9, s8
	v_writelane_b32 v254, s8, 35
	s_sub_i32 s8, 0, s11
	v_readfirstlane_b32 s9, v1
	s_mul_i32 s8, s8, s9
	s_mul_hi_u32 s8, s9, s8
	v_writelane_b32 v254, s11, 36
	s_add_i32 s8, s9, s8
	v_writelane_b32 v254, s8, 37
	v_writelane_b32 v254, s10, 38
	v_lshlrev_b32_e32 v3, 6, v13
	v_writelane_b32 v254, s20, 39
	v_and_b32_e32 v3, 0x2000, v3
	v_lshlrev_b32_e32 v0, 4, v0
	s_movk_i32 s8, 0x2100
	v_writelane_b32 v254, s28, 40
	v_add3_u32 v202, v3, v0, s8
	v_writelane_b32 v254, s29, 41
	s_ashr_i32 s8, s29, 31
	v_writelane_b32 v254, s8, 42
	s_lshl_b32 s8, s45, 1
	v_writelane_b32 v254, s8, 43
	s_lshl_b32 s8, s45, 6
	s_mul_i32 s19, s46, s6
	v_writelane_b32 v254, s8, 44
	s_lshl_b32 s8, s48, 1
	s_add_i32 s7, s2, s19
	v_and_b32_e32 v191, 28, v67
	v_or_b32_e32 v194, 3, v67
	v_writelane_b32 v254, s8, 45
	s_lshl_b32 s8, s48, 6
	v_subrev_u32_e32 v208, s10, v191
	v_subrev_u32_e32 v211, s10, v194
	v_writelane_b32 v254, s8, 46
	s_lshl_b32 s10, s7, 1
	v_writelane_b32 v254, s8, 47
	v_writelane_b32 v254, s9, 48
	;; [unrolled: 1-line block ×4, first 2 shown]
	s_lshl_b32 s10, s13, 1
	v_writelane_b32 v254, s8, 51
	s_add_i32 s2, s2, s17
	v_writelane_b32 v254, s9, 52
	s_lshl_b32 s74, s2, 1
	s_add_i32 s2, s3, s18
	s_mul_i32 s3, s51, s6
	v_writelane_b32 v254, s10, 53
	s_add_i32 s3, s3, s16
	v_writelane_b32 v254, s11, 54
	s_lshl_b32 s2, s2, 1
	s_load_dwordx16 s[80:95], s[4:5], 0x0
	v_writelane_b32 v254, s0, 55
	v_writelane_b32 v254, s1, 56
	;; [unrolled: 1-line block ×4, first 2 shown]
                                        ; implicit-def: $vgpr255 : SGPR spill to VGPR lane
	s_waitcnt lgkmcnt(0)
	v_writelane_b32 v254, s80, 59
	v_writelane_b32 v255, s85, 0
	;; [unrolled: 1-line block ×10, first 2 shown]
	s_mov_b64 s[16:17], s[76:77]
	v_writelane_b32 v255, s94, 9
	s_mov_b64 s[18:19], s[78:79]
	s_mul_i32 s6, s50, s6
	s_lshl_b32 s78, s14, 2
	s_lshl_b32 s14, s3, 1
	v_writelane_b32 v255, s95, 10
	s_add_i32 s6, s6, s15
	v_writelane_b32 v255, s12, 11
	v_writelane_b32 v255, s13, 12
	;; [unrolled: 1-line block ×10, first 2 shown]
	s_load_dword s40, s[4:5], 0xe8
	s_load_dwordx2 s[58:59], s[4:5], 0xe0
	v_lshlrev_b32_e32 v144, 1, v117
	v_writelane_b32 v255, s70, 21
	v_or_b32_e32 v0, 33, v144
	v_writelane_b32 v254, s81, 60
	v_writelane_b32 v255, s71, 22
	v_accvgpr_write_b32 a68, v0
	v_or_b32_e32 v0, 32, v144
	v_writelane_b32 v254, s82, 61
	v_writelane_b32 v255, s66, 23
	v_accvgpr_write_b32 a69, v0
	v_or_b32_e32 v0, 32, v173
	v_writelane_b32 v254, s83, 62
	v_writelane_b32 v255, s26, 24
	s_mov_b32 s23, s30
	v_lshlrev_b32_e32 v112, 1, v67
	v_lshrrev_b32_e32 v126, 2, v64
	v_and_or_b32 v140, v144, 8, v121
	v_lshlrev_b32_e32 v66, 1, v118
	v_lshlrev_b32_e32 v172, 3, v8
	;; [unrolled: 1-line block ×3, first 2 shown]
	v_or_b32_e32 v190, 64, v118
	v_or_b32_e32 v192, 1, v191
	;; [unrolled: 1-line block ×4, first 2 shown]
	v_lshlrev_b32_e32 v197, 3, v4
	v_add_u32_e32 v200, s21, v118
	v_add_u32_e32 v201, 0x2100, v198
	v_lshlrev_b32_e32 v204, 2, v118
	v_accvgpr_write_b32 a70, v0
	v_add_u32_e32 v207, s41, v191
	v_add_u32_e32 v209, s20, v191
	;; [unrolled: 1-line block ×4, first 2 shown]
	v_mov_b32_e32 v213, 0
	s_mov_b32 s75, 0x20000
	v_mov_b32_e32 v214, 0x7fff
	v_mov_b32_e32 v215, 0x7fff0000
	;; [unrolled: 1-line block ×9, first 2 shown]
	s_mov_b32 s61, 0x1000504
	s_mov_b32 s64, 0x3020706
	;; [unrolled: 1-line block ×5, first 2 shown]
	s_movk_i32 s52, 0xff
	s_mov_b32 s62, 0x5040100
	s_movk_i32 s42, 0x100
	s_lshl_b32 s10, s6, 1
	s_lshl_b32 s38, s34, 2
	v_writelane_b32 v254, s84, 63
	v_writelane_b32 v255, s57, 25
	s_branch .LBB1_4
.LBB1_2:                                ;   in Loop: Header=BB1_4 Depth=1
	v_mov_b32_e32 v28, 0
	v_mov_b32_e32 v30, 0
	;; [unrolled: 1-line block ×32, first 2 shown]
.LBB1_3:                                ;   in Loop: Header=BB1_4 Depth=1
	v_readlane_b32 s2, v254, 27
	s_mul_hi_i32 s3, s76, s2
	s_mul_i32 s2, s76, s2
	s_lshl_b64 s[2:3], s[2:3], 1
	v_readlane_b32 s4, v254, 15
	v_readlane_b32 s5, v254, 16
	s_add_u32 s4, s4, s2
	v_readlane_b32 s2, v254, 28
	s_addc_u32 s5, s5, s3
	s_mul_hi_i32 s3, s33, s2
	s_mul_i32 s2, s33, s2
	v_readlane_b32 s12, v255, 26
	s_lshl_b64 s[2:3], s[2:3], 1
	v_readlane_b32 s13, v255, 27
	s_add_u32 s12, s4, s2
	s_addc_u32 s13, s5, s3
	v_readlane_b32 s4, v254, 23
	v_readlane_b32 s6, v254, 25
	s_mul_hi_i32 s3, s76, s6
	s_mul_i32 s2, s76, s6
	v_readlane_b32 s80, v254, 59
	s_lshl_b64 s[2:3], s[2:3], 1
	v_readlane_b32 s94, v255, 9
	v_readlane_b32 s5, v254, 24
	;; [unrolled: 1-line block ×3, first 2 shown]
	s_add_u32 s4, s94, s2
	s_addc_u32 s5, s95, s3
	s_mul_hi_i32 s3, s33, s70
	s_mul_i32 s2, s33, s70
	v_readlane_b32 s8, v255, 30
	s_lshl_b64 s[2:3], s[2:3], 1
	v_readlane_b32 s9, v255, 31
	s_add_u32 s8, s4, s2
	s_addc_u32 s9, s5, s3
	;;#ASMSTART
	
             v_cmp_u_f32 s[2:3], v28, v28 
             v_bfe_u32 v17, v28, 16, 1 
             v_add3_u32 v17, v28, v17, v214 
             v_cndmask_b32 v28, v17, v215, s[2:3] 
             v_lshrrev_b32 v28, 16, v28 
             
	;;#ASMEND
	;;#ASMSTART
	
             v_cmp_u_f32 s[2:3], v30, v30 
             v_bfe_u32 v17, v30, 16, 1 
             v_add3_u32 v17, v30, v17, v214 
             v_cndmask_b32 v30, v17, v215, s[2:3] 
             v_lshrrev_b32 v30, 16, v30 
             
	;;#ASMEND
	;; [unrolled: 9-line block ×16, first 2 shown]
	v_readfirstlane_b32 s2, v65
	s_lshl_b32 s2, s2, 4
	s_add_i32 s2, s2, s54
	v_add_u32_e32 v20, s2, v118
	v_readlane_b32 s11, v255, 33
	v_mul_lo_u32 v17, v20, s50
	v_and_b32_e32 v19, 0xffff, v39
	v_and_b32_e32 v18, 0xffff, v28
	v_readlane_b32 s10, v255, 32
	v_lshl_or_b32 v18, v30, 16, v18
	v_lshl_or_b32 v19, v38, 16, v19
	s_mov_b32 s11, s75
	v_add_lshl_u32 v17, v17, v191, 1
	v_readlane_b32 s2, v254, 29
	buffer_store_dwordx2 v[18:19], v17, s[8:11], 0 offen
	v_and_b32_e32 v19, 0xffff, v34
	v_and_b32_e32 v18, 0xffff, v24
	v_lshl_or_b32 v18, v26, 16, v18
	v_lshl_or_b32 v19, v32, 16, v19
	buffer_store_dwordx2 v[18:19], v17, s[8:11], 0 offen offset:32
	v_and_b32_e32 v19, 0xffff, v37
	v_and_b32_e32 v18, 0xffff, v27
	v_lshl_or_b32 v18, v29, 16, v18
	v_lshl_or_b32 v19, v35, 16, v19
	v_add_u32_e32 v17, s2, v17
	v_add_u32_e32 v21, 32, v17
	buffer_store_dwordx2 v[18:19], v17, s[8:11], 0 offen
	v_and_b32_e32 v17, 0xffff, v33
	v_and_b32_e32 v16, 0xffff, v16
	v_lshl_or_b32 v16, v25, 16, v16
	v_lshl_or_b32 v17, v31, 16, v17
	buffer_store_dwordx2 v[16:17], v21, s[8:11], 0 offen
	;;#ASMSTART
	
             v_cmp_u_f32 s[2:3], v7, v7 
             v_bfe_u32 v16, v7, 16, 1 
             v_add3_u32 v16, v7, v16, v214 
             v_cndmask_b32 v7, v16, v215, s[2:3] 
             v_lshrrev_b32 v7, 16, v7 
             
	;;#ASMEND
	;;#ASMSTART
	
             v_cmp_u_f32 s[2:3], v10, v10 
             v_bfe_u32 v16, v10, 16, 1 
             v_add3_u32 v16, v10, v16, v214 
             v_cndmask_b32 v10, v16, v215, s[2:3] 
             v_lshrrev_b32 v10, 16, v10 
             
	;;#ASMEND
	;; [unrolled: 9-line block ×16, first 2 shown]
	v_mul_lo_u32 v18, v20, s51
	v_and_b32_e32 v7, 0xffff, v7
	v_and_b32_e32 v1, 0xffff, v1
	v_readlane_b32 s15, v255, 29
	v_and_b32_e32 v15, 0xffff, v15
	v_lshl_or_b32 v16, v10, 16, v7
	v_add_lshl_u32 v7, v18, v191, 1
	v_and_b32_e32 v11, 0xffff, v11
	v_lshl_or_b32 v10, v3, 16, v1
	v_and_b32_e32 v1, 0xffff, v13
	v_and_b32_e32 v3, 0xffff, v4
	v_readlane_b32 s2, v254, 30
	v_readlane_b32 s14, v255, 28
	v_lshl_or_b32 v17, v14, 16, v15
	s_mov_b32 s15, s75
	v_lshl_or_b32 v11, v8, 16, v11
	v_lshl_or_b32 v4, v5, 16, v3
	;; [unrolled: 1-line block ×3, first 2 shown]
	v_add_u32_e32 v1, s2, v7
	v_readlane_b32 s27, v255, 34
	buffer_store_dwordx2 v[16:17], v7, s[12:15], 0 offen
	buffer_store_dwordx2 v[10:11], v7, s[12:15], 0 offen offset:32
	v_add_u32_e32 v3, 32, v1
	buffer_store_dwordx2 v[4:5], v1, s[12:15], 0 offen
	v_and_b32_e32 v1, 0xffff, v9
	v_and_b32_e32 v0, 0xffff, v0
	s_add_i32 s27, s27, 1
	v_lshl_or_b32 v0, v2, 16, v0
	v_lshl_or_b32 v1, v6, 16, v1
	s_cmp_lt_i32 s27, s26
	v_readlane_b32 s7, v254, 26
	v_readlane_b32 s81, v254, 60
	;; [unrolled: 1-line block ×14, first 2 shown]
	buffer_store_dwordx2 v[0:1], v3, s[12:15], 0 offen
	s_cbranch_scc0 .LBB1_25
.LBB1_4:                                ; =>This Loop Header: Depth=1
                                        ;     Child Loop BB1_16 Depth 2
	s_ashr_i32 s2, s27, 31
	v_readlane_b32 s3, v254, 32
	s_xor_b32 s2, s2, s3
	s_abs_i32 s3, s27
	v_readlane_b32 s4, v254, 1
	s_mul_hi_u32 s4, s3, s4
	s_mul_i32 s5, s4, s53
	s_sub_i32 s3, s3, s5
	s_add_i32 s5, s4, 1
	s_sub_i32 s6, s3, s53
	s_cmp_ge_u32 s3, s53
	s_cselect_b32 s4, s5, s4
	s_cselect_b32 s3, s6, s3
	s_add_i32 s5, s4, 1
	s_cmp_ge_u32 s3, s53
	v_writelane_b32 v255, s12, 26
	s_cselect_b32 s3, s5, s4
	v_writelane_b32 v255, s13, 27
	s_xor_b32 s3, s3, s2
	v_writelane_b32 v255, s14, 28
	s_sub_i32 s4, s3, s2
	v_writelane_b32 v255, s15, 29
	s_mul_i32 s2, s4, s66
	v_writelane_b32 v255, s8, 30
	s_sub_i32 s6, s27, s2
	v_writelane_b32 v255, s9, 31
	s_bitcmp1_b32 s6, 0
	v_writelane_b32 v255, s10, 32
	s_cselect_b64 s[2:3], -1, 0
	v_writelane_b32 v255, s11, 33
	s_and_b64 vcc, exec, s[2:3]
	s_mov_b64 s[2:3], -1
                                        ; implicit-def: $sgpr5
	s_cbranch_vccz .LBB1_6
; %bb.5:                                ;   in Loop: Header=BB1_4 Depth=1
	s_lshr_b32 s2, s6, 31
	s_add_i32 s2, s6, s2
	s_ashr_i32 s2, s2, 1
	v_readlane_b32 s3, v254, 19
	s_sub_i32 s5, s3, s2
	s_mov_b64 s[2:3], 0
.LBB1_6:                                ;   in Loop: Header=BB1_4 Depth=1
	v_writelane_b32 v255, s27, 34
	s_andn2_b64 vcc, exec, s[2:3]
	s_cbranch_vccnz .LBB1_8
; %bb.7:                                ;   in Loop: Header=BB1_4 Depth=1
	s_ashr_i32 s5, s6, 1
.LBB1_8:                                ;   in Loop: Header=BB1_4 Depth=1
	s_ashr_i32 s2, s4, 31
	v_readlane_b32 s3, v254, 33
	s_xor_b32 s2, s2, s3
	s_abs_i32 s3, s4
	v_readlane_b32 s7, v254, 35
	s_mul_hi_u32 s7, s3, s7
	v_readlane_b32 s10, v254, 34
	s_mul_i32 s8, s7, s10
	s_sub_i32 s3, s3, s8
	s_add_i32 s8, s7, 1
	s_sub_i32 s9, s3, s10
	s_cmp_ge_u32 s3, s10
	s_cselect_b32 s7, s8, s7
	s_cselect_b32 s3, s9, s3
	s_add_i32 s8, s7, 1
	s_cmp_ge_u32 s3, s10
	s_cselect_b32 s3, s8, s7
	s_xor_b32 s3, s3, s2
	s_sub_i32 s33, s3, s2
	v_readlane_b32 s2, v254, 40
	s_mul_i32 s8, s33, s2
	v_readlane_b32 s2, v254, 0
	v_readlane_b32 s3, v254, 41
	s_mul_i32 s2, s33, s2
	s_sub_i32 s76, s4, s8
	s_ashr_i32 s3, s2, 31
	s_lshl_b32 s54, s5, 7
	s_ashr_i32 s77, s76, 31
	s_lshl_b64 s[2:3], s[2:3], 2
	v_readlane_b32 s4, v254, 21
	v_readlane_b32 s5, v254, 22
	s_add_u32 s4, s4, s2
	v_readlane_b32 s10, v254, 17
	s_addc_u32 s5, s5, s3
	s_lshl_b64 s[2:3], s[76:77], 2
	v_readlane_b32 s11, v254, 18
	s_add_u32 s4, s4, s2
	v_cndmask_b32_e64 v0, 0, 1, s[10:11]
	s_addc_u32 s5, s5, s3
	v_cmp_ne_u32_e64 s[2:3], 1, v0
	s_andn2_b64 vcc, exec, s[10:11]
	v_pk_mov_b32 v[0:1], s[16:17], s[16:17] op_sel:[0,1]
	s_cbranch_vccnz .LBB1_10
; %bb.9:                                ;   in Loop: Header=BB1_4 Depth=1
	v_pk_mov_b32 v[0:1], s[16:17], s[16:17] op_sel:[0,1]
	flat_load_dwordx2 v[0:1], v[0:1]
.LBB1_10:                               ;   in Loop: Header=BB1_4 Depth=1
	s_and_b64 vcc, exec, s[2:3]
	v_pk_mov_b32 v[2:3], s[18:19], s[18:19] op_sel:[0,1]
	s_cbranch_vccnz .LBB1_12
; %bb.11:                               ;   in Loop: Header=BB1_4 Depth=1
	v_pk_mov_b32 v[2:3], s[18:19], s[18:19] op_sel:[0,1]
	flat_load_dwordx2 v[2:3], v[2:3]
.LBB1_12:                               ;   in Loop: Header=BB1_4 Depth=1
	s_cmp_lg_u32 s6, 0
	s_cselect_b32 s31, s31, 0
	s_add_i32 s8, s8, s76
	s_lshl_b32 s2, s8, 6
	s_ashr_i32 s3, s2, 31
	s_waitcnt vmcnt(0) lgkmcnt(0)
	v_readfirstlane_b32 s43, v0
	v_mov_b32_e32 v0, s3
	v_readlane_b32 s3, v254, 38
	s_add_i32 s71, s54, s3
	s_add_i32 s3, s71, 0x7f
	s_min_i32 s3, s3, s34
	s_add_i32 s3, s3, 31
	v_readfirstlane_b32 s60, v1
	v_add_co_u32_e32 v1, vcc, s2, v2
	s_sub_i32 s2, s54, s41
	s_ashr_i32 s6, s3, 31
	s_max_i32 s2, s2, -1
	s_lshr_b32 s6, s6, 27
	s_add_i32 s2, s2, 1
	s_add_i32 s3, s3, s6
	s_and_b32 s14, s2, 0xffffffe0
	s_andn2_b32 s3, s3, 31
	s_sub_i32 s3, s3, s14
	s_ashr_i32 s6, s3, 31
	s_lshr_b32 s6, s6, 27
	s_or_b32 s3, s6, s3
	s_add_i32 s3, s3, 31
	s_ashr_i32 s7, s33, 31
	v_addc_co_u32_e32 v0, vcc, v3, v0, vcc
	s_ashr_i32 s3, s3, 5
	v_readfirstlane_b32 s56, v1
	v_readfirstlane_b32 s63, v0
	s_cmp_lt_i32 s3, 1
	v_readfirstlane_b32 s6, v65
	s_cbranch_scc1 .LBB1_2
; %bb.13:                               ;   in Loop: Header=BB1_4 Depth=1
	v_readlane_b32 s8, v254, 10
	v_readlane_b32 s9, v254, 11
	s_mul_hi_i32 s9, s76, s8
	s_mul_i32 s8, s76, s8
	v_readlane_b32 s10, v254, 12
	s_lshl_b64 s[8:9], s[8:9], 1
	v_readlane_b32 s80, v254, 59
	v_readlane_b32 s11, v254, 13
	s_mov_b32 s18, s10
	v_readlane_b32 s81, v254, 60
	s_add_u32 s10, s80, s8
	s_addc_u32 s11, s81, s9
	s_abs_i32 s8, s76
	v_readlane_b32 s9, v254, 37
	s_mul_hi_u32 s9, s8, s9
	v_readlane_b32 s16, v254, 36
	s_mul_i32 s12, s9, s16
	s_sub_i32 s8, s8, s12
	v_readlane_b32 s12, v254, 42
	s_xor_b32 s12, s77, s12
	s_add_i32 s13, s9, 1
	s_sub_i32 s15, s8, s16
	s_cmp_ge_u32 s8, s16
	s_cselect_b32 s9, s13, s9
	s_cselect_b32 s8, s15, s8
	s_add_i32 s13, s9, 1
	s_cmp_ge_u32 s8, s16
	s_cselect_b32 s8, s13, s9
	s_xor_b32 s8, s8, s12
	s_sub_i32 s12, s8, s12
	v_readlane_b32 s8, v254, 9
	s_mul_hi_i32 s9, s12, s8
	s_mul_i32 s8, s12, s8
	v_readlane_b32 s82, v254, 61
	s_lshl_b64 s[8:9], s[8:9], 1
	v_readlane_b32 s83, v254, 62
	s_add_u32 s15, s82, s8
	s_addc_u32 s16, s83, s9
	s_mul_hi_i32 s9, s12, s18
	s_mul_i32 s8, s12, s18
	v_readlane_b32 s84, v254, 63
	s_lshl_b64 s[8:9], s[8:9], 1
	v_readlane_b32 s85, v255, 0
	s_add_u32 s12, s84, s8
	v_readlane_b32 s8, v254, 2
	s_addc_u32 s13, s85, s9
	s_mul_hi_i32 s9, s76, s8
	s_mul_i32 s8, s76, s8
	v_readlane_b32 s86, v255, 1
	s_lshl_b64 s[8:9], s[8:9], 2
	v_readlane_b32 s87, v255, 2
	s_add_u32 s17, s86, s8
	v_readlane_b32 s90, v255, 5
	s_addc_u32 s18, s87, s9
	v_readlane_b32 s91, v255, 6
	s_add_u32 s19, s90, s8
	v_readlane_b32 s8, v254, 14
	s_addc_u32 s20, s91, s9
	s_mul_hi_i32 s9, s76, s8
	s_mul_i32 s8, s76, s8
	v_readlane_b32 s88, v255, 3
	s_lshl_b64 s[8:9], s[8:9], 1
	v_readlane_b32 s89, v255, 4
	s_add_u32 s21, s88, s8
	v_readlane_b32 s24, v254, 4
	s_addc_u32 s22, s89, s9
	s_mul_hi_i32 s9, s33, s24
	s_mul_i32 s8, s33, s24
	s_lshl_b64 s[8:9], s[8:9], 1
	v_readlane_b32 s26, v254, 6
	s_add_u32 s72, s10, s8
	s_addc_u32 s73, s11, s9
	s_mul_hi_i32 s9, s33, s26
	s_mul_i32 s8, s33, s26
	s_lshl_b64 s[8:9], s[8:9], 1
	s_mov_b32 s30, s38
	v_readlane_b32 s36, v254, 51
	v_readlane_b32 s37, v254, 52
	s_add_u32 s36, s12, s8
	s_addc_u32 s37, s13, s9
	s_mul_hi_i32 s9, s33, s23
	s_mul_i32 s8, s33, s23
	s_lshl_b64 s[8:9], s[8:9], 2
	s_add_u32 s84, s19, s8
	s_mul_i32 s7, s68, s7
	s_mul_hi_u32 s10, s68, s33
	s_addc_u32 s85, s20, s9
	s_add_i32 s7, s10, s7
	v_readlane_b32 s10, v254, 3
	v_readlane_b32 s25, v254, 5
	;; [unrolled: 1-line block ×3, first 2 shown]
	s_mul_hi_i32 s11, s33, s10
	s_mul_i32 s10, s33, s10
	s_mul_i32 s12, s69, s33
	s_add_i32 s13, s7, s12
	s_lshl_b64 s[10:11], s[10:11], 1
	v_readlane_b32 s24, v254, 47
	v_readlane_b32 s25, v254, 48
	s_add_u32 s24, s15, s10
	s_addc_u32 s25, s16, s11
	s_add_u32 s28, s17, s8
	v_readlane_b32 s7, v254, 8
	s_addc_u32 s29, s18, s9
	s_mul_hi_i32 s9, s33, s7
	s_mul_i32 s8, s33, s7
	s_lshl_b64 s[8:9], s[8:9], 1
	v_readlane_b32 s80, v254, 55
	v_readlane_b32 s81, v254, 56
	s_add_u32 s80, s21, s8
	s_addc_u32 s81, s22, s9
	s_mul_hi_i32 s9, s31, s57
	s_mul_i32 s8, s31, s57
	v_readlane_b32 s92, v255, 7
	s_lshl_b64 s[8:9], s[8:9], 2
	v_readlane_b32 s93, v255, 8
	s_add_u32 s7, s92, s8
	v_readlane_b32 s16, v254, 23
	s_addc_u32 s10, s93, s9
	v_readlane_b32 s17, v254, 24
	s_mul_i32 s8, s16, s77
	s_mul_hi_u32 s9, s16, s76
	s_add_i32 s8, s9, s8
	s_mul_i32 s9, s17, s76
	s_add_i32 s9, s8, s9
	s_mul_i32 s8, s16, s76
	s_lshl_b64 s[8:9], s[8:9], 2
	s_add_u32 s7, s7, s8
	s_mul_i32 s12, s68, s33
	s_addc_u32 s10, s10, s9
	s_lshl_b64 s[8:9], s[12:13], 2
	s_mov_b32 s88, s76
	s_add_u32 s76, s7, s8
	s_addc_u32 s77, s10, s9
	s_lshl_b32 s6, s6, 5
	global_load_dword v4, v213, s[4:5]
	v_readfirstlane_b32 s4, v65
	s_add_i32 s6, s6, s54
	v_add_u32_e32 v0, s6, v112
	s_lshl_b32 s6, s4, 4
	v_and_or_b32 v2, s6, 48, v118
	v_add_u32_e32 v5, s6, v67
	s_and_b32 s6, s4, 1
	v_readlane_b32 s27, v254, 50
	v_or_b32_e32 v6, s6, v115
	v_or_b32_sdwa v7, s6, v122 dst_sel:DWORD dst_unused:UNUSED_PAD src0_sel:DWORD src1_sel:WORD_0
	v_or_b32_sdwa v29, s6, v124 dst_sel:DWORD dst_unused:UNUSED_PAD src0_sel:DWORD src1_sel:WORD_0
	;; [unrolled: 1-line block ×3, first 2 shown]
	v_or_b32_e32 v31, s6, v127
	v_or_b32_e32 v32, s6, v131
	;; [unrolled: 1-line block ×11, first 2 shown]
	v_mad_u64_u32 v[0:1], s[6:7], v0, s46, v[64:65]
	v_readlane_b32 s26, v254, 49
	v_lshlrev_b32_e32 v1, 1, v0
	s_mov_b32 s27, s75
	v_add_lshl_u32 v0, v0, s46, 1
	v_lshl_add_u32 v18, s4, 5, v119
	v_or_b32_e32 v47, 1, v18
	buffer_load_dwordx4 v[10:13], v1, s[24:27], 0 offen
	buffer_load_dwordx4 v[14:17], v0, s[24:27], 0 offen
	v_lshrrev_b32_e32 v48, 31, v18
	v_add_u32_e32 v48, v47, v48
	v_ashrrev_i32_e32 v21, 31, v18
	v_ashrrev_i32_e32 v49, 1, v48
	v_and_b32_e32 v50, 0xffffffe, v48
	v_ashrrev_i32_e32 v48, 31, v48
	v_ashrrev_i32_e32 v20, 1, v18
	v_lshrrev_b32_e32 v22, 29, v21
	v_lshrrev_b32_e32 v48, 29, v48
	v_add_u32_e32 v22, v20, v22
	v_add_u32_e32 v48, v49, v48
	v_and_b32_e32 v22, -8, v22
	v_sub_u32_e32 v47, v47, v50
	v_and_b32_e32 v48, 0xffffff8, v48
	v_sub_u32_e32 v22, v20, v22
	v_add_u32_e32 v47, v47, v126
	v_sub_u32_e32 v48, v49, v48
	v_xor_b32_e32 v22, v22, v126
	v_lshlrev_b32_e32 v23, 6, v18
	v_xor_b32_e32 v47, v47, v48
	v_lshl_add_u32 v23, v22, 4, v23
	v_sub_u32_e32 v20, v49, v20
	v_sub_u32_e32 v22, v47, v22
	v_lshlrev_b32_e32 v20, 7, v20
	v_lshlrev_b32_e32 v22, 4, v22
	v_add3_u32 v20, v23, v20, v22
	v_bfe_u32 v1, v2, 1, 3
	v_lshrrev_b32_e32 v0, 1, v2
	v_xor_b32_e32 v1, v1, v114
	v_lshlrev_b32_e32 v0, 6, v0
	v_lshlrev_b32_e32 v1, 3, v1
	v_or3_b32 v19, v1, v0, v113
	v_add_u32_e32 v0, s54, v5
	v_readlane_b32 s39, v254, 54
	v_mul_lo_u32 v0, v0, s47
	v_readlane_b32 s38, v254, 53
	v_add_lshl_u32 v0, v0, v64, 1
	s_mov_b32 s39, s75
	s_lshl_b32 s5, s4, 2
	s_and_b32 s5, s5, -16
	v_add_u32_e32 v8, s5, v170
	buffer_load_dwordx4 v[24:27], v0, s[36:39], 0 offen
	v_or_b32_e32 v42, s5, v118
	s_bfe_u32 s5, s4, 0x1001d
	s_lshl_b32 s4, s4, 3
	v_add_u32_e32 v43, s5, v42
	s_and_b32 s5, s4, 0x1fffff0
	s_mov_b32 s6, s26
	v_readlane_b32 s82, v254, 57
	v_readlane_b32 s83, v254, 58
	;; [unrolled: 1-line block ×4, first 2 shown]
	v_or_b32_e32 v44, s5, v118
	v_writelane_b32 v254, s4, 47
	v_writelane_b32 v254, s5, 48
	;; [unrolled: 1-line block ×4, first 2 shown]
	v_readlane_b32 s5, v254, 20
	v_add_u32_e32 v1, s5, v0
	buffer_load_dwordx4 v[0:3], v1, s[36:39], 0 offen
	s_mov_b32 s6, s38
	v_writelane_b32 v254, s4, 51
	v_writelane_b32 v254, s5, 52
	;; [unrolled: 1-line block ×4, first 2 shown]
	s_movk_i32 s5, 0x80
	v_xor_b32_e32 v45, v6, v123
	v_xor_b32_e32 v7, v7, v123
	v_lshl_or_b32 v46, v45, 2, v116
	v_xor_b32_e32 v6, v6, v140
	s_mov_b32 s38, s30
	s_mov_b32 s83, s75
	s_mov_b64 s[36:37], s[28:29]
	s_mov_b32 s86, s38
	s_mov_b32 s87, s75
	v_add_co_u32_e64 v9, vcc, 0, 0
	v_addc_co_u32_e32 v28, vcc, 16, v8, vcc
	s_waitcnt vmcnt(3)
	ds_write_b128 v23, v[10:13]
	s_waitcnt vmcnt(2)
	ds_write_b128 v20, v[14:17]
	v_perm_b32 v20, v10, v14, s61
	v_perm_b32 v10, v10, v14, s64
	;; [unrolled: 1-line block ×8, first 2 shown]
	v_lshrrev_b32_e32 v17, 27, v21
	v_add_u32_e32 v17, v18, v17
	v_and_b32_e32 v22, 0xffffffe0, v17
	v_sub_u32_e32 v18, v18, v22
	v_lshrrev_b16_sdwa v22, v216, sext(v18) dst_sel:DWORD dst_unused:UNUSED_PAD src0_sel:DWORD src1_sel:BYTE_0
	v_and_b32_e32 v22, 15, v22
	v_add_u16_e32 v22, v18, v22
	v_ashrrev_i32_e32 v21, 5, v17
	v_ashrrev_i16_sdwa v23, v217, sext(v22) dst_sel:DWORD dst_unused:UNUSED_PAD src0_sel:DWORD src1_sel:BYTE_0
	v_and_b32_e32 v22, 0xf0, v22
	v_ashrrev_i32_e32 v17, 31, v17
	v_sub_u16_e32 v18, v18, v22
	v_lshlrev_b32_e32 v22, 3, v21
	v_lshrrev_b32_e32 v17, 28, v17
	v_ashrrev_i16_sdwa v18, v218, sext(v18) dst_sel:DWORD dst_unused:UNUSED_PAD src0_sel:DWORD src1_sel:BYTE_0
	v_add_u32_e32 v47, v22, v17
	v_bfe_i32 v18, v18, 0, 16
	v_and_b32_e32 v47, -16, v47
	v_lshl_or_b32 v18, v18, 1, v120
	v_sub_u32_e32 v47, v22, v47
	v_xor_b32_e32 v47, v18, v47
	v_lshlrev_b32_sdwa v23, v216, sext(v23) dst_sel:DWORD dst_unused:UNUSED_PAD src0_sel:DWORD src1_sel:WORD_0
	v_lshlrev_b32_e32 v48, 2, v47
	v_lshl_or_b32 v21, v21, 9, v128
	v_add3_u32 v21, v21, v23, v48
	v_lshlrev_b32_e32 v23, 1, v21
	ds_write_b32 v23, v20 offset:8192
	v_or_b32_e32 v20, 1, v22
	v_add_u32_e32 v48, 0x2000, v23
	v_add_u32_e32 v23, v20, v17
	v_and_b32_e32 v23, -16, v23
	v_sub_u32_e32 v20, v20, v23
	v_xor_b32_e32 v20, v18, v20
	v_sub_u32_e32 v23, v20, v47
	v_lshl_add_u32 v21, v23, 2, v21
	v_lshl_add_u32 v23, v23, 3, v48
	ds_write_b32 v23, v10 offset:128
	v_or_b32_e32 v10, 2, v22
	v_add_u32_e32 v47, v10, v17
	v_and_b32_e32 v47, -16, v47
	v_sub_u32_e32 v10, v10, v47
	v_xor_b32_e32 v10, v18, v10
	v_sub_u32_e32 v20, v10, v20
	v_lshlrev_b32_e32 v47, 2, v20
	v_lshlrev_b32_e32 v20, 3, v20
	v_or_b32_e32 v48, 3, v22
	v_add3_u32 v20, v23, s5, v20
	v_add_u32_e32 v49, v48, v17
	ds_write_b32 v20, v14 offset:128
	v_or_b32_e32 v14, 4, v22
	v_and_b32_e32 v49, -16, v49
	v_add_u32_e32 v23, v14, v17
	v_sub_u32_e32 v48, v48, v49
	v_and_b32_e32 v23, -16, v23
	v_xor_b32_e32 v48, v18, v48
	v_sub_u32_e32 v14, v14, v23
	v_sub_u32_e32 v10, v48, v10
	v_xor_b32_e32 v14, v18, v14
	v_lshlrev_b32_e32 v49, 2, v10
	v_sub_u32_e32 v23, v14, v48
	v_or_b32_e32 v48, 5, v22
	v_lshlrev_b32_e32 v10, 3, v10
	v_add3_u32 v21, v21, v47, v49
	v_add_u32_e32 v49, v48, v17
	v_add3_u32 v10, v20, s5, v10
	v_and_b32_e32 v49, -16, v49
	ds_write_b32 v10, v11 offset:128
	v_or_b32_e32 v11, 6, v22
	v_sub_u32_e32 v48, v48, v49
	v_add_u32_e32 v20, v11, v17
	v_xor_b32_e32 v48, v18, v48
	v_and_b32_e32 v20, -16, v20
	v_lshlrev_b32_e32 v47, 2, v23
	v_sub_u32_e32 v14, v48, v14
	v_sub_u32_e32 v11, v11, v20
	v_lshlrev_b32_e32 v23, 3, v23
	v_lshlrev_b32_e32 v49, 2, v14
	v_xor_b32_e32 v11, v18, v11
	v_add3_u32 v10, v10, s5, v23
	v_lshlrev_b32_e32 v14, 3, v14
	v_sub_u32_e32 v20, v11, v48
	ds_write_b32 v10, v15 offset:128
	v_add3_u32 v10, v10, s5, v14
	ds_write_b32 v10, v12 offset:128
	v_lshlrev_b32_e32 v12, 3, v20
	v_add3_u32 v10, v10, s5, v12
	ds_write_b32 v10, v16 offset:128
	v_or_b32_e32 v10, 7, v22
	v_add_u32_e32 v12, v10, v17
	v_and_b32_e32 v12, 0x1ffffff0, v12
	v_sub_u32_e32 v10, v10, v12
	v_add3_u32 v21, v21, v47, v49
	v_lshlrev_b32_e32 v47, 2, v20
	v_xor_b32_e32 v10, v18, v10
	v_add_lshl_u32 v21, v21, v47, 1
	v_sub_u32_e32 v10, v10, v11
	v_lshl_add_u32 v10, v10, 3, v21
	v_sub_u32_e32 v11, v7, v45
	ds_write_b32 v10, v13 offset:9088
	v_lshl_add_u32 v13, v11, 2, v46
	v_xor_b32_e32 v14, v29, v123
	v_sub_u32_e32 v14, v14, v7
	v_lshlrev_b32_e32 v15, 1, v13
	v_lshlrev_b32_e32 v10, 1, v46
	v_lshl_add_u32 v14, v14, 3, v15
	v_xor_b32_e32 v15, v30, v123
	v_xor_b32_e32 v29, v31, v129
	v_lshl_add_u32 v11, v11, 3, v10
	v_sub_u32_e32 v7, v15, v7
	v_sub_u32_e32 v15, v29, v15
	v_xor_b32_e32 v31, v32, v132
	v_lshl_add_u32 v13, v7, 2, v13
	v_lshl_add_u32 v7, v7, 3, v11
	;; [unrolled: 1-line block ×3, first 2 shown]
	v_sub_u32_e32 v29, v31, v29
	v_lshlrev_b32_e32 v12, 1, v19
	v_lshl_add_u32 v30, v15, 1, v7
	v_lshl_add_u32 v29, v29, 2, v133
	s_waitcnt lgkmcnt(0)
	s_barrier
	ds_read_b128 v[20:23], v12
	ds_read_b128 v[16:19], v12 offset:4096
	s_waitcnt lgkmcnt(0)
	s_barrier
	v_add3_u32 v13, v15, v13, v29
	v_lshl_add_u32 v15, v29, 1, v30
	ds_read_b32 v76, v10 offset:8192
	ds_read_b32 v77, v11 offset:8192
	;; [unrolled: 1-line block ×6, first 2 shown]
	v_xor_b32_e32 v7, v33, v135
	v_sub_u32_e32 v10, v7, v31
	v_xor_b32_e32 v14, v34, v138
	v_lshl_add_u32 v10, v10, 2, v136
	v_sub_u32_e32 v7, v14, v7
	v_lshl_add_u32 v11, v10, 1, v15
	v_lshl_add_u32 v7, v7, 2, v139
	ds_read_b32 v78, v11 offset:8192
	v_add3_u32 v10, v10, v13, v7
	v_lshl_add_u32 v7, v7, 1, v11
	v_sub_u32_e32 v11, v6, v14
	v_xor_b32_e32 v13, v35, v143
	v_lshl_add_u32 v11, v11, 2, v141
	v_sub_u32_e32 v6, v13, v6
	ds_read_b32 v79, v7 offset:8192
	v_lshl_add_u32 v7, v11, 1, v7
	v_lshl_add_u32 v6, v6, 2, v145
	ds_read_b32 v68, v7 offset:8192
	v_add3_u32 v10, v11, v10, v6
	v_lshl_add_u32 v6, v6, 1, v7
	v_xor_b32_e32 v7, v36, v151
	v_sub_u32_e32 v11, v7, v13
	v_xor_b32_e32 v13, v37, v154
	v_lshl_add_u32 v11, v11, 2, v152
	v_sub_u32_e32 v7, v13, v7
	ds_read_b32 v69, v6 offset:8192
	v_lshl_add_u32 v6, v11, 1, v6
	v_lshl_add_u32 v7, v7, 2, v155
	ds_read_b32 v72, v6 offset:8192
	v_add3_u32 v10, v11, v10, v7
	v_lshl_add_u32 v6, v7, 1, v6
	v_xor_b32_e32 v7, v38, v157
	;; [unrolled: 11-line block ×3, first 2 shown]
	v_sub_u32_e32 v11, v7, v13
	v_lshl_add_u32 v11, v11, 2, v164
	ds_read_b32 v81, v6 offset:8192
	v_lshl_add_u32 v6, v11, 1, v6
	ds_read_b32 v82, v6 offset:8192
	v_xor_b32_e32 v6, v41, v166
	v_sub_u32_e32 v6, v6, v7
	v_lshlrev_b32_e32 v6, 3, v6
	v_add_lshl_u32 v7, v11, v10, 1
	v_add3_u32 v6, v167, v6, v7
	ds_read_b32 v83, v6 offset:8192
	v_lshrrev_b32_e32 v6, 31, v5
	v_add_u32_e32 v6, v5, v6
	v_ashrrev_i32_e32 v7, 1, v6
	v_and_b32_e32 v10, -2, v6
	v_ashrrev_i32_e32 v6, 31, v6
	v_lshrrev_b32_e32 v6, 29, v6
	v_add_u32_e32 v6, v7, v6
	v_sub_u32_e32 v10, v5, v10
	v_and_b32_e32 v6, -8, v6
	v_add_u32_e32 v10, v10, v126
	v_sub_u32_e32 v6, v7, v6
	v_xor_b32_e32 v6, v10, v6
	v_lshlrev_b32_e32 v10, 4, v6
	v_lshl_add_u32 v7, v7, 7, v10
	v_add_u32_e32 v5, 64, v5
	s_waitcnt vmcnt(1)
	ds_write_b128 v7, v[24:27]
	v_lshrrev_b32_e32 v7, 31, v5
	v_add_u32_e32 v7, v5, v7
	v_ashrrev_i32_e32 v11, 1, v7
	v_and_b32_e32 v13, 0xffffffe, v7
	v_ashrrev_i32_e32 v7, 31, v7
	v_lshrrev_b32_e32 v7, 29, v7
	v_add_u32_e32 v7, v11, v7
	v_sub_u32_e32 v5, v5, v13
	v_and_b32_e32 v7, 0xffffff8, v7
	v_add_u32_e32 v5, v5, v126
	v_sub_u32_e32 v7, v11, v7
	v_xor_b32_e32 v5, v5, v7
	v_sub_u32_e32 v5, v5, v6
	v_lshlrev_b32_e32 v6, 7, v11
	v_lshlrev_b32_e32 v5, 4, v5
	v_add_u32_e32 v14, s4, v175
	s_add_i32 s4, s4, s14
	v_add3_u32 v5, v6, v10, v5
	v_add_u32_e32 v13, s4, v144
	s_waitcnt vmcnt(0)
	ds_write_b128 v5, v[0:3]
	v_mad_u64_u32 v[0:1], s[6:7], v13, s45, v[66:67]
	v_lshlrev_b32_e32 v1, 1, v0
	v_add_lshl_u32 v0, v0, s45, 1
	s_waitcnt lgkmcnt(0)
	s_barrier
	buffer_load_dword v15, v1, s[72:75], 0 offen
	buffer_load_dword v24, v0, s[72:75], 0 offen
	v_cvt_f64_f32_e32 v[10:11], v4
	ds_read_b128 v[4:7], v12
	ds_read_b128 v[0:3], v12 offset:4096
	v_ashrrev_i32_e32 v12, 31, v43
	v_ashrrev_i32_e32 v25, 1, v43
	v_lshrrev_b32_e32 v12, 27, v12
	v_add_u32_e32 v12, v25, v12
	v_and_b32_e32 v12, 0xffffffe0, v12
	v_sub_u32_e32 v26, v25, v12
	v_and_b32_e32 v12, -2, v43
	v_sub_u32_e32 v29, v42, v12
	v_mad_u64_u32 v[12:13], s[6:7], v13, s48, v[66:67]
	v_or_b32_e32 v13, s14, v173
	v_lshlrev_b32_e32 v31, 1, v12
	v_add_lshl_u32 v12, v12, s48, 1
	v_lshlrev_b32_e32 v13, 2, v13
	buffer_load_dword v31, v31, s[80:83], 0 offen
	v_writelane_b32 v254, s80, 55
	buffer_load_dword v30, v13, s[36:39], 0 offen
	v_add_u32_e32 v32, v29, v168
	buffer_load_dword v13, v13, s[84:87], 0 offen
	v_or_b32_e32 v39, 1, v14
	v_lshrrev_b32_e32 v40, 31, v14
	buffer_load_dword v12, v12, s[80:83], 0 offen
	v_xor_b32_e32 v33, v32, v26
	v_add_u32_e32 v40, v39, v40
	v_lshlrev_b32_e32 v27, 6, v25
	v_lshlrev_b32_e32 v34, 1, v33
	v_ashrrev_i32_e32 v35, 31, v14
	v_ashrrev_i32_e32 v41, 1, v40
	v_and_b32_e32 v43, 0x7ffffffe, v40
	v_ashrrev_i32_e32 v40, 31, v40
	v_add3_u32 v27, v27, v169, v34
	v_ashrrev_i32_e32 v34, 1, v14
	v_lshrrev_b32_e32 v36, 27, v35
	v_lshrrev_b32_e32 v40, 27, v40
	v_add_u32_e32 v36, v34, v36
	v_add_u32_e32 v40, v41, v40
	v_and_b32_e32 v36, 0xffffffe0, v36
	v_sub_u32_e32 v39, v39, v43
	v_and_b32_e32 v40, 0x7fffffe0, v40
	v_sub_u32_e32 v36, v34, v36
	v_add_u32_e32 v39, v39, v174
	v_sub_u32_e32 v40, v41, v40
	v_xor_b32_e32 v36, v36, v174
	v_lshlrev_b32_e32 v37, 5, v14
	v_xor_b32_e32 v39, v39, v40
	v_lshl_add_u32 v37, v36, 1, v37
	v_sub_u32_e32 v34, v41, v34
	v_sub_u32_e32 v36, v39, v36
	v_lshlrev_b32_e32 v36, 1, v36
	v_lshl_add_u32 v34, v34, 6, v37
	v_lshlrev_b32_e32 v38, 1, v37
	v_add_lshl_u32 v34, v34, v36, 1
	s_waitcnt lgkmcnt(0)
	s_barrier
	s_movk_i32 s5, 0x1000
	v_lshlrev_b32_e32 v231, 1, v27
	v_sub_u32_e32 v29, v181, v29
	v_lshlrev_b32_e32 v239, 2, v8
	v_alignbit_b32 v240, v28, v9, 30
	s_mov_b32 s6, 0x652b82fe
	s_mov_b32 s7, 0x3ff71547
	v_writelane_b32 v254, s81, 56
	v_mul_f64 v[8:9], v[10:11], s[6:7]
	v_writelane_b32 v254, s82, 57
	v_cvt_f32_f64_e32 v8, v[8:9]
	v_readlane_b32 s94, v255, 9
	v_readlane_b32 s95, v255, 10
	v_writelane_b32 v255, s31, 35
	v_writelane_b32 v254, s83, 58
	v_cndmask_b32_e64 v224, -v8, v8, s[0:1]
	v_lshl_or_b32 v228, v44, 7, v172
	s_waitcnt vmcnt(5)
	ds_write_b32 v38, v15 offset:6144
	s_waitcnt vmcnt(4)
	ds_write_b32 v34, v24 offset:6144
	v_perm_b32 v36, v15, v24, s61
	v_perm_b32 v15, v15, v24, s64
	v_lshrrev_b32_e32 v24, 29, v35
	v_add_u32_e32 v24, v14, v24
	v_and_b32_e32 v37, -8, v24
	v_sub_u32_e32 v14, v14, v37
	v_lshrrev_b16_sdwa v37, v219, sext(v14) dst_sel:DWORD dst_unused:UNUSED_PAD src0_sel:DWORD src1_sel:BYTE_0
	v_and_b32_e32 v37, 3, v37
	v_add_u16_e32 v37, v14, v37
	v_ashrrev_i32_e32 v35, 3, v24
	v_ashrrev_i16_sdwa v39, v220, sext(v37) dst_sel:DWORD dst_unused:UNUSED_PAD src0_sel:DWORD src1_sel:BYTE_0
	v_and_b32_e32 v37, 0xfc, v37
	v_ashrrev_i32_e32 v24, 31, v24
	v_sub_u16_e32 v14, v14, v37
	v_lshlrev_b32_e32 v37, 1, v35
	v_lshrrev_b32_e32 v24, 28, v24
	v_ashrrev_i16_sdwa v14, v218, sext(v14) dst_sel:DWORD dst_unused:UNUSED_PAD src0_sel:DWORD src1_sel:BYTE_0
	v_add_u32_e32 v40, v37, v24
	v_bfe_i32 v14, v14, 0, 16
	v_and_b32_e32 v40, -16, v40
	v_lshl_or_b32 v14, v14, 3, v176
	v_sub_u32_e32 v40, v37, v40
	v_bfe_i32 v39, v39, 0, 16
	v_xor_b32_e32 v40, v14, v40
	v_lshl_or_b32 v35, v35, 7, v128
	v_lshlrev_b32_e32 v41, 2, v40
	v_lshl_add_u32 v35, v39, 9, v35
	v_add_lshl_u32 v35, v35, v41, 1
	ds_write_b32 v35, v36
	v_or_b32_e32 v36, 1, v37
	v_add_u32_e32 v24, v36, v24
	v_and_b32_e32 v24, 0x1ffffff0, v24
	v_sub_u32_e32 v24, v36, v24
	v_xor_b32_e32 v14, v14, v24
	v_sub_u32_e32 v14, v14, v40
	v_lshlrev_b32_e32 v14, 3, v14
	v_add_u32_e32 v24, v35, v14
	ds_write_b32 v24, v15 offset:128
	s_waitcnt vmcnt(2)
	ds_write_b32 v177, v30 offset:8192
	ds_write_b32 v38, v31 offset:2048
	s_waitcnt vmcnt(0)
	ds_write_b32 v34, v12 offset:2048
	v_perm_b32 v15, v31, v12, s61
	v_perm_b32 v12, v31, v12, s64
	v_add3_u32 v14, v35, s5, v14
	ds_write_b32 v35, v15 offset:4096
	ds_write_b32 v14, v12 offset:128
	;; [unrolled: 1-line block ×3, first 2 shown]
	v_add_u32_e32 v12, v32, v178
	v_xor_b32_e32 v13, v12, v26
	v_sub_u32_e32 v13, v13, v33
	v_add_u32_e32 v12, v12, v179
	v_lshl_add_u32 v232, v13, 2, v231
	v_xor_b32_e32 v13, v12, v26
	v_sub_u32_e32 v13, v13, v33
	v_add_u32_e32 v12, v12, v180
	v_lshl_add_u32 v233, v13, 2, v231
	v_xor_b32_e32 v13, v12, v26
	v_sub_u32_e32 v14, v13, v33
	v_lshlrev_b32_e32 v15, 1, v14
	v_lshl_add_u32 v234, v14, 2, v231
	v_add_u32_e32 v14, 16, v42
	v_lshrrev_b32_e32 v24, 31, v14
	v_add_u32_e32 v24, v14, v24
	v_and_b32_e32 v30, -2, v24
	v_sub_u32_e32 v14, v14, v30
	v_add3_u32 v12, v29, v14, v12
	v_ashrrev_i32_e32 v14, 31, v24
	v_ashrrev_i32_e32 v26, 1, v24
	v_lshrrev_b32_e32 v14, 27, v14
	v_add_u32_e32 v14, v26, v14
	v_and_b32_e32 v14, 0xffffffe0, v14
	v_sub_u32_e32 v14, v26, v14
	v_sub_u32_e32 v25, v26, v25
	v_xor_b32_e32 v24, v12, v14
	v_sub_u32_e32 v13, v24, v13
	v_lshlrev_b32_e32 v25, 6, v25
	v_lshl_add_u32 v13, v13, 1, v25
	v_add_u32_e32 v12, v12, v178
	v_add3_u32 v15, v15, v27, v13
	v_lshl_add_u32 v235, v13, 1, v234
	v_xor_b32_e32 v13, v12, v14
	v_sub_u32_e32 v13, v13, v24
	v_add_u32_e32 v12, v12, v179
	v_lshl_add_u32 v236, v13, 2, v235
	v_xor_b32_e32 v13, v12, v14
	v_add_u32_e32 v12, v12, v180
	v_xor_b32_e32 v12, v12, v14
	v_sub_u32_e32 v13, v13, v24
	v_sub_u32_e32 v12, v12, v24
	v_lshlrev_b32_e32 v13, 1, v13
	v_lshlrev_b32_e32 v12, 1, v12
	v_add_lshl_u32 v237, v13, v15, 1
	v_add_lshl_u32 v238, v12, v15, 1
	s_waitcnt lgkmcnt(0)
	s_barrier
	ds_read2st64_b32 v[92:93], v231 offset0:8 offset1:24
	ds_read2st64_b32 v[94:95], v232 offset0:8 offset1:24
	;; [unrolled: 1-line block ×8, first 2 shown]
	ds_read_b128 v[24:27], v239 offset:8192
	ds_read_b128 v[32:35], v239 offset:8320
	;; [unrolled: 1-line block ×4, first 2 shown]
	; sched_barrier mask(0x00000000)
	s_cmp_lg_u32 s3, 1
	v_add_u32_e32 v229, s54, v200
	v_add_u32_e32 v230, s54, v118
	s_cbranch_scc0 .LBB1_18
; %bb.14:                               ;   in Loop: Header=BB1_4 Depth=1
	v_accvgpr_read_b32 v8, a68
	v_accvgpr_read_b32 v9, a69
	s_ashr_i32 s5, s54, 31
	s_add_i32 s22, s3, -1
	v_add_u32_e32 v8, s4, v8
	v_readlane_b32 s3, v254, 43
	v_add_u32_e32 v9, s4, v9
	s_lshr_b32 s5, s5, 28
	v_mul_lo_u32 v241, s3, v8
	v_mul_lo_u32 v242, s3, v9
	v_readlane_b32 s3, v254, 45
	s_add_i32 s5, s54, s5
	v_mul_lo_u32 v243, s3, v8
	v_accvgpr_read_b32 v8, a70
	s_lshr_b32 s2, s2, 4
	v_accvgpr_write_b32 a67, v146
	v_accvgpr_write_b32 a66, v145
	;; [unrolled: 1-line block ×28, first 2 shown]
	s_mov_b32 s30, s23
	s_mov_b32 s31, s53
	v_add_u32_e32 v227, s54, v200
	v_add_u32_e32 v225, s54, v190
	;; [unrolled: 1-line block ×3, first 2 shown]
	s_add_i32 s68, s54, 0x80
	s_mov_b32 s29, s71
	s_min_i32 s69, s71, s34
	s_ashr_i32 s71, s5, 4
	s_mov_b32 s79, s75
	s_add_i32 s81, s43, 0xb54cda56
	s_add_u32 s15, s43, 0x9e3779b9
	s_add_u32 s70, s60, 0xbb67ae85
	;; [unrolled: 1-line block ×10, first 2 shown]
	s_add_i32 s21, s60, 0x646e171e
	v_mul_lo_u32 v244, s3, v9
	v_add_lshl_u32 v245, v8, s14, 2
	s_sub_i32 s23, s14, 32
	s_and_b32 s24, s2, 0xffffffe
	v_accvgpr_write_b32 a11, 0
	v_accvgpr_write_b32 a10, 0
	;; [unrolled: 1-line block ×32, first 2 shown]
	v_mov_b32_e32 v246, v204
	v_mov_b32_e32 v247, v204
	;; [unrolled: 1-line block ×3, first 2 shown]
	s_waitcnt lgkmcnt(3)
	v_mov_b32_e32 v44, v24
	v_mov_b32_e32 v45, v25
	;; [unrolled: 1-line block ×4, first 2 shown]
	s_waitcnt lgkmcnt(1)
	v_mov_b32_e32 v40, v28
	v_mov_b32_e32 v41, v29
	;; [unrolled: 1-line block ×8, first 2 shown]
	s_waitcnt lgkmcnt(0)
	v_mov_b32_e32 v8, v36
	v_mov_b32_e32 v9, v37
	v_mov_b32_e32 v10, v38
	v_mov_b32_e32 v11, v39
	v_mov_b32_e32 v90, v92
	v_mov_b32_e32 v91, v94
	v_mov_b32_e32 v88, v96
	v_mov_b32_e32 v89, v98
	v_mov_b32_e32 v84, v100
	v_mov_b32_e32 v85, v102
	v_mov_b32_e32 v86, v104
	v_mov_b32_e32 v87, v106
	v_mov_b32_e32 v48, v93
	v_mov_b32_e32 v49, v95
	v_mov_b32_e32 v56, v97
	v_mov_b32_e32 v57, v99
	v_mov_b32_e32 v110, v101
	v_mov_b32_e32 v111, v103
	v_mov_b32_e32 v108, v105
	v_mov_b32_e32 v109, v107
	s_branch .LBB1_16
.LBB1_15:                               ;   in Loop: Header=BB1_16 Depth=2
	v_mul_f32_e32 v132, 0x3fb8aa3b, v44
	v_cmp_neq_f32_e32 vcc, s65, v44
	v_cndmask_b32_e32 v44, 0, v132, vcc
	v_sub_f32_e32 v112, v112, v44
	v_sub_f32_e32 v44, v113, v44
	v_exp_f32_e32 v113, v44
	v_mul_f32_e32 v44, 0x3fb8aa3b, v45
	v_cmp_neq_f32_e32 vcc, s65, v45
	v_cndmask_b32_e32 v44, 0, v44, vcc
	v_sub_f32_e32 v45, v114, v44
	v_sub_f32_e32 v44, v115, v44
	v_exp_f32_e32 v115, v44
	v_mul_f32_e32 v44, 0x3fb8aa3b, v46
	v_cmp_neq_f32_e32 vcc, s65, v46
	v_cndmask_b32_e32 v44, 0, v44, vcc
	v_exp_f32_e32 v114, v45
	v_sub_f32_e32 v45, v205, v44
	v_sub_f32_e32 v44, v206, v44
	v_exp_f32_e32 v133, v44
	v_mul_f32_e32 v44, 0x3fb8aa3b, v47
	v_cmp_neq_f32_e32 vcc, s65, v47
	v_cndmask_b32_e32 v44, 0, v44, vcc
	v_exp_f32_e32 v132, v45
	v_sub_f32_e32 v45, v116, v44
	v_sub_f32_e32 v44, v119, v44
	v_exp_f32_e32 v119, v44
	v_mul_f32_e32 v44, 0x3fb8aa3b, v40
	v_cmp_neq_f32_e32 vcc, s65, v40
	v_cndmask_b32_e32 v40, 0, v44, vcc
	v_readfirstlane_b32 s25, v65
	v_sub_f32_e32 v44, v120, v40
	v_sub_f32_e32 v40, v122, v40
	s_ashr_i32 s2, s25, 31
	v_exp_f32_e32 v122, v40
	v_mul_f32_e32 v40, 0x3fb8aa3b, v41
	v_cmp_neq_f32_e32 vcc, s65, v41
	s_lshr_b32 s2, s2, 30
	v_cndmask_b32_e32 v40, 0, v40, vcc
	s_add_i32 s2, s25, s2
	v_sub_f32_e32 v41, v124, v40
	v_sub_f32_e32 v40, v125, v40
	s_ashr_i32 s3, s2, 2
	s_and_b32 s2, s2, -4
	v_exp_f32_e32 v125, v40
	v_mul_f32_e32 v40, 0x3fb8aa3b, v42
	v_cmp_neq_f32_e32 vcc, s65, v42
	s_sub_i32 s2, s25, s2
	v_cndmask_b32_e32 v40, 0, v40, vcc
	s_add_i32 s26, s2, s71
	v_exp_f32_e32 v124, v41
	v_sub_f32_e32 v41, v127, v40
	v_sub_f32_e32 v40, v129, v40
	s_lshr_b32 s2, s26, 31
	v_exp_f32_e32 v129, v40
	v_mul_f32_e32 v40, 0x3fb8aa3b, v43
	v_cmp_neq_f32_e32 vcc, s65, v43
	s_add_i32 s2, s26, s2
	v_cndmask_b32_e32 v40, 0, v40, vcc
	s_ashr_i32 s5, s2, 1
	s_and_b32 s2, s2, 0xffffffe
	v_exp_f32_e32 v127, v41
	v_sub_f32_e32 v41, v130, v40
	v_sub_f32_e32 v40, v131, v40
	s_sub_i32 s2, s26, s2
	v_exp_f32_e32 v131, v40
	s_lshl_b32 s3, s3, 1
	v_lshl_add_u32 v40, s2, 4, v195
	v_exp_f32_e32 v130, v41
	s_add_i32 s3, s24, s3
	v_ashrrev_i32_e32 v41, 31, v40
	v_add_co_u32_e32 v40, vcc, s56, v40
	v_mov_b32_e32 v134, s63
	s_ashr_i32 s4, s3, 1
	v_addc_co_u32_e32 v42, vcc, v134, v41, vcc
	v_mad_u64_u32 v[40:41], s[2:3], v40, s67, 0
	s_mul_hi_u32 s2, s4, 0xcd9e8d57
	s_xor_b32 s27, s43, s2
	v_xor_b32_e32 v42, s27, v42
	s_xor_b32 s2, s60, s5
	v_xor_b32_e32 v41, s2, v41
	v_mad_u64_u32 v[42:43], s[2:3], v42, s67, 0
	s_mul_i32 s6, s4, 0xcd9e8d57
	v_xor_b32_e32 v43, s70, v43
	v_exp_f32_e32 v116, v45
	v_exp_f32_e32 v120, v44
	v_mad_u64_u32 v[44:45], s[2:3], v41, s55, 0
	s_xor_b32 s28, s6, s15
	v_xor_b32_e32 v43, v43, v40
	v_xor_b32_e32 v41, s28, v45
	v_mad_u64_u32 v[46:47], s[2:3], v43, s55, 0
	v_mad_u64_u32 v[40:41], s[2:3], v41, s67, 0
	v_xor_b32_e32 v43, s53, v47
	v_xor_b32_e32 v43, v43, v44
	v_xor_b32_e32 v41, s66, v41
	v_xor_b32_e32 v41, v41, v42
	v_mad_u64_u32 v[42:43], s[2:3], v43, s67, 0
	v_mad_u64_u32 v[44:45], s[2:3], v41, s55, 0
	v_xor_b32_e32 v43, s16, v43
	v_xor_b32_e32 v41, s57, v45
	;; [unrolled: 6-line block ×5, first 2 shown]
	v_xor_b32_e32 v41, v41, v42
	v_cmp_ne_u32_e32 vcc, 0, v171
	v_xor_b32_e32 v41, s21, v41
	v_cndmask_b32_e32 v42, v43, v46, vcc
	v_cmp_eq_u32_e64 s[2:3], 2, v171
	v_cmp_eq_u32_e64 s[6:7], 1, v196
	v_cndmask_b32_e64 v42, v42, v41, s[2:3]
	v_cmp_eq_u32_e64 s[4:5], 3, v171
	v_cndmask_b32_e64 v43, v43, v46, s[6:7]
	v_cmp_eq_u32_e64 s[8:9], 2, v196
	v_exp_f32_e32 v112, v112
	v_cndmask_b32_e64 v42, v42, v40, s[4:5]
	v_cndmask_b32_e64 v41, v43, v41, s[8:9]
	v_cmp_eq_u32_e64 s[10:11], 3, v196
	v_cndmask_b32_e64 v40, v41, v40, s[10:11]
	v_and_b32_e32 v41, 0xff, v42
	v_cmp_lt_u16_sdwa s[12:13], s40, v41 src0_sel:BYTE_0 src1_sel:DWORD
	v_lshrrev_b32_e32 v41, 8, v42
	v_and_b32_e32 v41, 0xff, v41
	v_cndmask_b32_e64 v135, v112, -v112, s[12:13]
	v_cmp_lt_u16_sdwa s[12:13], s40, v41 src0_sel:BYTE_0 src1_sel:DWORD
	v_and_b32_sdwa v41, v42, s52 dst_sel:DWORD dst_unused:UNUSED_PAD src0_sel:WORD_1 src1_sel:DWORD
	v_cndmask_b32_e64 v136, v114, -v114, s[12:13]
	v_cmp_lt_u16_sdwa s[12:13], s40, v41 src0_sel:BYTE_0 src1_sel:DWORD
	v_lshrrev_b32_e32 v41, 24, v42
	v_cndmask_b32_e64 v132, v132, -v132, s[12:13]
	v_cmp_lt_u16_sdwa s[12:13], s40, v41 src0_sel:BYTE_0 src1_sel:DWORD
	v_and_b32_e32 v41, 0xff, v40
	v_cndmask_b32_e64 v116, v116, -v116, s[12:13]
	v_cmp_lt_u16_sdwa s[12:13], s40, v41 src0_sel:BYTE_0 src1_sel:DWORD
	v_lshrrev_b32_e32 v41, 8, v40
	v_and_b32_e32 v41, 0xff, v41
	v_cndmask_b32_e64 v120, v120, -v120, s[12:13]
	v_cmp_lt_u16_sdwa s[12:13], s40, v41 src0_sel:BYTE_0 src1_sel:DWORD
	v_and_b32_sdwa v41, v40, s52 dst_sel:DWORD dst_unused:UNUSED_PAD src0_sel:WORD_1 src1_sel:DWORD
	v_cndmask_b32_e64 v205, v124, -v124, s[12:13]
	v_cmp_lt_u16_sdwa s[12:13], s40, v41 src0_sel:BYTE_0 src1_sel:DWORD
	v_lshrrev_b32_e32 v40, 24, v40
	v_cndmask_b32_e64 v127, v127, -v127, s[12:13]
	v_cmp_lt_u16_sdwa s[12:13], s40, v40 src0_sel:BYTE_0 src1_sel:DWORD
	v_cndmask_b32_e64 v206, v130, -v130, s[12:13]
	s_add_i32 s12, s26, 4
	s_lshr_b32 s13, s12, 31
	s_add_i32 s13, s12, s13
	s_ashr_i32 s26, s13, 1
	s_and_b32 s13, s13, 0xffffffe
	s_sub_i32 s12, s12, s13
	v_lshl_add_u32 v40, s12, 4, v195
	buffer_load_dword v203, v245, s[36:39], 0 offen
	buffer_load_dword v253, v245, s[84:87], 0 offen
	v_ashrrev_i32_e32 v41, 31, v40
	v_add_co_u32_e64 v40, s[12:13], s56, v40
	v_addc_co_u32_e64 v42, s[12:13], v134, v41, s[12:13]
	v_mad_u64_u32 v[40:41], s[12:13], v40, s67, 0
	v_xor_b32_e32 v42, s27, v42
	s_xor_b32 s12, s60, s26
	v_xor_b32_e32 v41, s12, v41
	v_mad_u64_u32 v[42:43], s[12:13], v42, s67, 0
	v_xor_b32_e32 v43, s70, v43
	v_mad_u64_u32 v[44:45], s[12:13], v41, s55, 0
	v_xor_b32_e32 v43, v43, v40
	v_xor_b32_e32 v41, s28, v45
	v_mad_u64_u32 v[46:47], s[12:13], v43, s55, 0
	v_mad_u64_u32 v[40:41], s[12:13], v41, s67, 0
	v_xor_b32_e32 v43, s53, v47
	v_xor_b32_e32 v43, v43, v44
	v_xor_b32_e32 v41, s66, v41
	v_xor_b32_e32 v41, v41, v42
	v_mad_u64_u32 v[42:43], s[12:13], v43, s67, 0
	v_mad_u64_u32 v[44:45], s[12:13], v41, s55, 0
	v_xor_b32_e32 v43, s16, v43
	v_xor_b32_e32 v41, s57, v45
	;; [unrolled: 6-line block ×5, first 2 shown]
	v_xor_b32_e32 v41, v41, v42
	v_xor_b32_e32 v41, s21, v41
	v_cndmask_b32_e32 v42, v43, v46, vcc
	v_cndmask_b32_e64 v42, v42, v41, s[2:3]
	v_cndmask_b32_e64 v43, v43, v46, s[6:7]
	;; [unrolled: 1-line block ×5, first 2 shown]
	v_and_b32_e32 v41, 0xff, v42
	v_cmp_lt_u16_sdwa s[2:3], s40, v41 src0_sel:BYTE_0 src1_sel:DWORD
	v_lshrrev_b32_e32 v41, 8, v42
	v_and_b32_e32 v41, 0xff, v41
	v_cndmask_b32_e64 v134, v113, -v113, s[2:3]
	v_cmp_lt_u16_sdwa s[2:3], s40, v41 src0_sel:BYTE_0 src1_sel:DWORD
	v_and_b32_sdwa v41, v42, s52 dst_sel:DWORD dst_unused:UNUSED_PAD src0_sel:WORD_1 src1_sel:DWORD
	v_cndmask_b32_e64 v137, v115, -v115, s[2:3]
	v_cmp_lt_u16_sdwa s[2:3], s40, v41 src0_sel:BYTE_0 src1_sel:DWORD
	v_lshrrev_b32_e32 v41, 24, v42
	v_cndmask_b32_e64 v133, v133, -v133, s[2:3]
	v_cmp_lt_u16_sdwa s[2:3], s40, v41 src0_sel:BYTE_0 src1_sel:DWORD
	v_and_b32_e32 v41, 0xff, v40
	v_cndmask_b32_e64 v119, v119, -v119, s[2:3]
	v_cmp_lt_u16_sdwa s[2:3], s40, v41 src0_sel:BYTE_0 src1_sel:DWORD
	v_lshrrev_b32_e32 v41, 8, v40
	v_and_b32_e32 v41, 0xff, v41
	v_cndmask_b32_e64 v122, v122, -v122, s[2:3]
	v_cmp_lt_u16_sdwa s[2:3], s40, v41 src0_sel:BYTE_0 src1_sel:DWORD
	v_and_b32_sdwa v41, v40, s52 dst_sel:DWORD dst_unused:UNUSED_PAD src0_sel:WORD_1 src1_sel:DWORD
	v_cndmask_b32_e64 v138, v125, -v125, s[2:3]
	v_cmp_lt_u16_sdwa s[2:3], s40, v41 src0_sel:BYTE_0 src1_sel:DWORD
	v_lshrrev_b32_e32 v40, 24, v40
	v_cndmask_b32_e64 v129, v129, -v129, s[2:3]
	v_cmp_lt_u16_sdwa s[2:3], s40, v40 src0_sel:BYTE_0 src1_sel:DWORD
	v_max_f32_e32 v40, 0, v135
	ds_read_b32 a16, v182 offset:4096
	ds_read_b32 a17, v183 offset:4096
	;; [unrolled: 1-line block ×8, first 2 shown]
	;;#ASMSTART
	
             v_cmp_u_f32 s[4:5], v40, v40 
             v_bfe_u32 v41, v40, 16, 1 
             v_add3_u32 v41, v40, v41, v214 
             v_cndmask_b32 v40, v41, v215, s[4:5] 
             v_lshrrev_b32 v40, 16, v40 
             
	;;#ASMEND
	v_max_f32_e32 v41, 0, v136
	;;#ASMSTART
	
             v_cmp_u_f32 s[4:5], v41, v41 
             v_bfe_u32 v42, v41, 16, 1 
             v_add3_u32 v42, v41, v42, v214 
             v_cndmask_b32 v41, v42, v215, s[4:5] 
             v_lshrrev_b32 v41, 16, v41 
             
	;;#ASMEND
	v_max_f32_e32 v42, 0, v132
	;; [unrolled: 10-line block ×9, first 2 shown]
	v_perm_b32 v40, v41, v40, s62
	v_perm_b32 v41, v43, v42, s62
	v_max_f32_e32 v43, 0, v127
	v_max_f32_e32 v114, 0, v206
	;;#ASMSTART
	
             v_cmp_u_f32 s[4:5], v113, v113 
             v_bfe_u32 v42, v113, 16, 1 
             v_add3_u32 v42, v113, v42, v214 
             v_cndmask_b32 v113, v42, v215, s[4:5] 
             v_lshrrev_b32 v113, 16, v113 
             
	;;#ASMEND
	;;#ASMSTART
	
             v_cmp_u_f32 s[4:5], v43, v43 
             v_bfe_u32 v42, v43, 16, 1 
             v_add3_u32 v42, v43, v42, v214 
             v_cndmask_b32 v43, v42, v215, s[4:5] 
             v_lshrrev_b32 v43, 16, v43 
             
	;;#ASMEND
	;; [unrolled: 9-line block ×3, first 2 shown]
	v_perm_b32 v42, v113, v112, s62
	v_perm_b32 v43, v114, v43, s62
	v_max_f32_e32 v112, 0, v122
	v_perm_b32 v114, v45, v44, s62
	v_perm_b32 v115, v47, v46, s62
	v_cndmask_b32_e64 v139, v131, -v131, s[2:3]
	;;#ASMSTART
	
             v_cmp_u_f32 s[2:3], v112, v112 
             v_bfe_u32 v113, v112, 16, 1 
             v_add3_u32 v113, v112, v113, v214 
             v_cndmask_b32 v112, v113, v215, s[2:3] 
             v_lshrrev_b32 v112, 16, v112 
             
	;;#ASMEND
	v_max_f32_e32 v113, 0, v138
	s_waitcnt lgkmcnt(6)
	v_mfma_f32_16x16x16bf16_1k a[4:7], a[16:17], v[114:115], a[4:7]
	;;#ASMSTART
	
             v_cmp_u_f32 s[2:3], v113, v113 
             v_bfe_u32 v44, v113, 16, 1 
             v_add3_u32 v44, v113, v44, v214 
             v_cndmask_b32 v113, v44, v215, s[2:3] 
             v_lshrrev_b32 v113, 16, v113 
             
	;;#ASMEND
	v_max_f32_e32 v44, 0, v129
	;;#ASMSTART
	
             v_cmp_u_f32 s[2:3], v44, v44 
             v_bfe_u32 v45, v44, 16, 1 
             v_add3_u32 v45, v44, v45, v214 
             v_cndmask_b32 v44, v45, v215, s[2:3] 
             v_lshrrev_b32 v44, 16, v44 
             
	;;#ASMEND
	v_max_f32_e32 v45, 0, v139
	;;#ASMSTART
	
             v_cmp_u_f32 s[2:3], v45, v45 
             v_bfe_u32 v46, v45, 16, 1 
             v_add3_u32 v46, v45, v46, v214 
             v_cndmask_b32 v45, v46, v215, s[2:3] 
             v_lshrrev_b32 v45, 16, v45 
             
	;;#ASMEND
	v_perm_b32 v46, v113, v112, s62
	v_perm_b32 v47, v45, v44, s62
	ds_read_b32 v44, v186
	ds_read_b32 v45, v187
	s_waitcnt lgkmcnt(6)
	v_mfma_f32_16x16x16bf16_1k a[4:7], a[18:19], v[46:47], a[4:7]
	ds_read_b32 v124, v182
	ds_read_b32 v125, v183
	;; [unrolled: 1-line block ×6, first 2 shown]
	; sched_group_barrier mask(0x00000008) size(1) SyncID(0)
	; sched_group_barrier mask(0x00000100) size(1) SyncID(0)
	;; [unrolled: 1-line block ×12, first 2 shown]
	v_mfma_f32_16x16x16bf16_1k a[0:3], a[16:17], v[40:41], a[0:3]
	v_mfma_f32_16x16x16bf16_1k a[0:3], a[18:19], v[42:43], a[0:3]
	; sched_group_barrier mask(0x00000008) size(1) SyncID(0)
	; sched_group_barrier mask(0x00000100) size(1) SyncID(0)
	;; [unrolled: 1-line block ×4, first 2 shown]
	; sched_barrier mask(0x00000000)
	s_lshl_b32 s2, s25, 3
	v_add_u32_e32 v140, s2, v175
	v_or_b32_e32 v147, 1, v140
	v_lshrrev_b32_e32 v148, 31, v140
	v_add_u32_e32 v148, v147, v148
	v_ashrrev_i32_e32 v142, 31, v140
	v_ashrrev_i32_e32 v149, 1, v148
	v_and_b32_e32 v150, 0x7ffffffe, v148
	v_ashrrev_i32_e32 v148, 31, v148
	v_ashrrev_i32_e32 v141, 1, v140
	v_mfma_f32_16x16x16bf16_1k a[16:19], v[90:91], v[4:5], 0
	v_lshrrev_b32_e32 v143, 27, v142
	v_lshrrev_b32_e32 v148, 27, v148
	v_add_u32_e32 v143, v141, v143
	v_add_u32_e32 v148, v149, v148
	v_and_b32_e32 v143, 0xffffffe0, v143
	v_sub_u32_e32 v147, v147, v150
	v_and_b32_e32 v148, 0x7fffffe0, v148
	v_sub_u32_e32 v143, v141, v143
	v_add_u32_e32 v147, v147, v174
	v_sub_u32_e32 v148, v149, v148
	v_xor_b32_e32 v143, v143, v174
	v_lshlrev_b32_e32 v145, 5, v140
	v_xor_b32_e32 v147, v147, v148
	v_lshl_add_u32 v145, v143, 1, v145
	v_sub_u32_e32 v141, v149, v141
	v_sub_u32_e32 v143, v147, v143
	v_lshlrev_b32_e32 v143, 1, v143
	v_lshl_add_u32 v141, v141, 6, v145
	v_lshlrev_b32_e32 v146, 1, v145
	v_add_lshl_u32 v141, v141, v143, 1
	s_waitcnt lgkmcnt(0)
	s_barrier
	s_waitcnt vmcnt(5)
	ds_write_b32 v146, v251 offset:6144
	v_mfma_f32_16x16x16bf16_1k a[16:19], v[88:89], v[6:7], a[16:19]
	s_waitcnt vmcnt(4)
	ds_write_b32 v141, v252 offset:6144
	s_movk_i32 s3, 0x1000
	; sched_group_barrier mask(0x00000008) size(1) SyncID(0)
	; sched_group_barrier mask(0x00000200) size(1) SyncID(0)
	;; [unrolled: 1-line block ×4, first 2 shown]
	v_mfma_f32_16x16x16bf16_1k a[20:23], v[90:91], v[0:1], 0
	v_lshrrev_b32_e32 v91, 29, v142
	v_add_u32_e32 v91, v140, v91
	v_and_b32_e32 v143, -8, v91
	v_sub_u32_e32 v140, v140, v143
	v_lshrrev_b16_sdwa v143, v219, sext(v140) dst_sel:DWORD dst_unused:UNUSED_PAD src0_sel:DWORD src1_sel:BYTE_0
	v_and_b32_e32 v143, 3, v143
	v_add_u16_e32 v143, v140, v143
	v_ashrrev_i32_e32 v142, 3, v91
	v_ashrrev_i16_sdwa v145, v220, sext(v143) dst_sel:DWORD dst_unused:UNUSED_PAD src0_sel:DWORD src1_sel:BYTE_0
	v_and_b32_e32 v143, 0xfc, v143
	v_ashrrev_i32_e32 v91, 31, v91
	v_sub_u16_e32 v140, v140, v143
	v_lshlrev_b32_e32 v143, 1, v142
	v_lshrrev_b32_e32 v91, 28, v91
	v_ashrrev_i16_sdwa v140, v218, sext(v140) dst_sel:DWORD dst_unused:UNUSED_PAD src0_sel:DWORD src1_sel:BYTE_0
	v_add_u32_e32 v147, v143, v91
	v_bfe_i32 v140, v140, 0, 16
	v_and_b32_e32 v147, -16, v147
	v_lshl_or_b32 v140, v140, 3, v176
	v_sub_u32_e32 v147, v143, v147
	v_bfe_i32 v145, v145, 0, 16
	v_xor_b32_e32 v147, v140, v147
	v_lshl_or_b32 v142, v142, 7, v128
	v_lshlrev_b32_e32 v148, 2, v147
	v_lshl_add_u32 v142, v145, 9, v142
	v_perm_b32 v90, v251, v252, s61
	v_add_lshl_u32 v142, v142, v148, 1
	ds_write_b32 v142, v90
	v_mfma_f32_16x16x16bf16_1k a[20:23], v[88:89], v[2:3], a[20:23]
	v_or_b32_e32 v89, 1, v143
	v_add_u32_e32 v90, v89, v91
	v_and_b32_e32 v90, 0x1ffffff0, v90
	v_sub_u32_e32 v89, v89, v90
	v_xor_b32_e32 v89, v140, v89
	v_sub_u32_e32 v89, v89, v147
	v_lshlrev_b32_e32 v89, 3, v89
	v_perm_b32 v88, v251, v252, s64
	v_add_u32_e32 v90, v142, v89
	ds_write_b32 v90, v88 offset:128
	v_mfma_f32_16x16x16bf16_1k a[24:27], v[84:85], v[4:5], 0
	s_waitcnt vmcnt(1)
	ds_write_b32 v177, v203 offset:8192
	v_accvgpr_read_b32 v88, a16
	v_accvgpr_read_b32 v90, a17
	;; [unrolled: 1-line block ×4, first 2 shown]
	v_perm_b32 v203, v249, v250, s61
	v_add3_u32 v89, v142, s3, v89
	v_mfma_f32_16x16x16bf16_1k a[24:27], v[86:87], v[6:7], a[24:27]
	ds_write_b32 v146, v249 offset:2048
	v_perm_b32 v249, v249, v250, s64
	v_accvgpr_read_b32 v143, a20
	v_accvgpr_read_b32 v145, a21
	; sched_group_barrier mask(0x00000008) size(1) SyncID(0)
	; sched_group_barrier mask(0x00000200) size(1) SyncID(0)
	;; [unrolled: 1-line block ×8, first 2 shown]
	v_mfma_f32_16x16x16bf16_1k a[16:19], v[84:85], v[0:1], 0
	ds_write_b32 v141, v250 offset:2048
	v_accvgpr_read_b32 v84, a22
	v_accvgpr_read_b32 v85, a23
	; sched_group_barrier mask(0x00000008) size(1) SyncID(0)
	; sched_group_barrier mask(0x00000200) size(1) SyncID(0)
	s_nop 2
	v_accvgpr_read_b32 v146, a24
	v_accvgpr_read_b32 v147, a25
	v_mfma_f32_16x16x16bf16_1k a[16:19], v[86:87], v[2:3], a[16:19]
	v_accvgpr_read_b32 v148, a26
	v_accvgpr_read_b32 v149, a27
	ds_write_b32 v142, v203 offset:4096
	ds_write_b32 v89, v249 offset:128
	s_waitcnt vmcnt(0)
	ds_write_b32 v177, v253 offset:8320
	; sched_group_barrier mask(0x00000008) size(1) SyncID(0)
	; sched_group_barrier mask(0x00000200) size(1) SyncID(0)
	s_nop 4
	v_accvgpr_read_b32 v86, a16
	v_accvgpr_read_b32 v87, a17
	;; [unrolled: 1-line block ×4, first 2 shown]
	; sched_barrier mask(0x00000000)
	v_cmp_nle_f32_e32 vcc, 0, v135
	v_sub_f32_e32 v88, v88, v12
	v_cndmask_b32_e32 v88, v88, v12, vcc
	v_cmp_nle_f32_e32 vcc, 0, v134
	v_sub_f32_e32 v89, v143, v12
	v_cndmask_b32_e32 v12, v89, v12, vcc
	v_mul_f32_e32 v89, v134, v12
	v_cmp_nle_f32_e32 vcc, 0, v136
	v_sub_f32_e32 v12, v90, v13
	v_cndmask_b32_e32 v12, v12, v13, vcc
	v_mul_f32_e32 v90, v136, v12
	;; [unrolled: 4-line block ×15, first 2 shown]
	v_mul_f32_e32 v132, v139, v8
	;;#ASMSTART
	
             v_cmp_u_f32 s[4:5], v88, v88 
             v_bfe_u32 v8, v88, 16, 1 
             v_add3_u32 v8, v88, v8, v214 
             v_cndmask_b32 v88, v8, v215, s[4:5] 
             v_lshrrev_b32 v88, 16, v88 
             
	;;#ASMEND
	;;#ASMSTART
	
             v_cmp_u_f32 s[4:5], v90, v90 
             v_bfe_u32 v8, v90, 16, 1 
             v_add3_u32 v8, v90, v8, v214 
             v_cndmask_b32 v90, v8, v215, s[4:5] 
             v_lshrrev_b32 v90, 16, v90 
             
	;;#ASMEND
	;; [unrolled: 9-line block ×16, first 2 shown]
	s_lshl_b32 s4, s25, 2
	s_and_b32 s4, s4, -16
	v_add_u32_e32 v135, s4, v191
	v_ashrrev_i32_e32 v136, 31, v135
	v_lshrrev_b32_e32 v136, 28, v136
	s_lshl_b32 s3, s25, 4
	v_add_u32_e32 v137, v135, v136
	v_and_or_b32 v133, s3, 48, v118
	v_and_b32_e32 v137, -16, v137
	v_lshrrev_b32_e32 v133, 3, v133
	v_sub_u32_e32 v137, v135, v137
	v_xor_b32_e32 v138, v137, v133
	v_lshl_or_b32 v139, v135, 7, v121
	v_lshl_add_u32 v139, v138, 3, v139
	v_perm_b32 v14, v90, v88, s62
	v_perm_b32 v15, v116, v91, s62
	v_lshlrev_b32_e32 v140, 1, v139
	s_movk_i32 s4, 0x2100
	v_mfma_f32_16x16x16bf16_1k a[8:11], v[124:125], v[14:15], a[8:11]
	ds_write_b16 v140, v88 offset:8448
	v_or_b32_e32 v88, 1, v135
	v_add_u32_e32 v141, v88, v136
	v_and_b32_e32 v141, -16, v141
	v_sub_u32_e32 v88, v88, v141
	v_xor_b32_e32 v141, v88, v133
	v_sub_u32_e32 v138, v141, v138
	v_lshlrev_b32_e32 v142, 4, v138
	v_add3_u32 v140, v140, s4, v142
	v_perm_b32 v12, v134, v89, s62
	v_perm_b32 v13, v85, v84, s62
	ds_write_b16 v140, v90 offset:256
	v_or_b32_e32 v90, 2, v135
	v_mfma_f32_16x16x16bf16_1k a[12:15], v[124:125], v[12:13], a[12:15]
	v_add_u32_e32 v124, v90, v136
	v_and_b32_e32 v124, -16, v124
	v_sub_u32_e32 v90, v90, v124
	v_xor_b32_e32 v124, v90, v133
	v_sub_u32_e32 v125, v124, v141
	v_or_b32_e32 v141, 3, v135
	v_add_u32_e32 v136, v141, v136
	v_and_b32_e32 v136, -16, v136
	v_sub_u32_e32 v136, v141, v136
	v_xor_b32_e32 v141, v136, v133
	v_lshlrev_b32_e32 v142, 4, v125
	v_sub_u32_e32 v124, v141, v124
	v_add3_u32 v140, v140, s42, v142
	ds_write_b16 v140, v91 offset:256
	v_lshlrev_b32_e32 v91, 4, v124
	v_add3_u32 v91, v140, s42, v91
	ds_write_b16 v91, v116 offset:256
	v_or_b32_e32 v116, 8, v133
	v_xor_b32_e32 v137, v116, v137
	v_sub_u32_e32 v140, v137, v141
	v_lshl_add_u32 v140, v140, 3, v222
	v_xor_b32_e32 v88, v88, v116
	v_lshlrev_b32_e32 v141, 1, v140
	v_perm_b32 v10, v120, v119, s62
	v_perm_b32 v11, v129, v122, s62
	v_sub_u32_e32 v137, v88, v137
	v_add3_u32 v91, v91, s42, v141
	v_mfma_f32_16x16x16bf16_1k a[8:11], v[130:131], v[10:11], a[8:11]
	ds_write_b16 v91, v89
	v_lshl_add_u32 v89, v137, 4, v91
	v_lshl_add_u32 v91, v138, 3, v139
	v_lshlrev_b32_e32 v125, 3, v125
	v_lshlrev_b32_e32 v124, 3, v124
	v_add3_u32 v91, v91, v125, v124
	v_xor_b32_e32 v90, v90, v116
	v_xor_b32_e32 v125, v136, v116
	v_perm_b32 v8, v87, v86, s62
	v_perm_b32 v9, v132, v127, s62
	v_lshlrev_b32_e32 v124, 3, v137
	v_sub_u32_e32 v88, v90, v88
	v_sub_u32_e32 v90, v125, v90
	ds_write_b16 v89, v134 offset:256
	v_mfma_f32_16x16x16bf16_1k a[12:15], v[130:131], v[8:9], a[12:15]
	v_add3_u32 v91, v91, v140, v124
	v_lshlrev_b32_e32 v124, 3, v88
	v_lshlrev_b32_e32 v130, 3, v90
	v_add3_u32 v91, v91, v124, v130
	v_add_u32_e32 v124, 16, v135
	v_add_u32_e32 v134, 17, v135
	v_ashrrev_i32_e32 v130, 31, v124
	v_ashrrev_i32_e32 v136, 31, v134
	v_lshrrev_b32_e32 v130, 28, v130
	v_lshrrev_b32_e32 v136, 28, v136
	v_add_u32_e32 v130, v124, v130
	v_add_u32_e32 v136, v134, v136
	v_and_b32_e32 v130, -16, v130
	v_and_b32_e32 v136, -16, v136
	v_sub_u32_e32 v124, v124, v130
	v_sub_u32_e32 v134, v134, v136
	v_xor_b32_e32 v130, v124, v133
	v_xor_b32_e32 v136, v134, v133
	v_sub_u32_e32 v125, v130, v125
	v_sub_u32_e32 v130, v136, v130
	v_lshlrev_b32_e32 v131, 3, v125
	v_lshlrev_b32_e32 v137, 3, v130
	v_add3_u32 v91, v91, v131, v137
	v_add_u32_e32 v131, 18, v135
	v_lshlrev_b32_e32 v88, 4, v88
	v_ashrrev_i32_e32 v137, 31, v131
	v_add_u32_e32 v135, 19, v135
	v_add3_u32 v88, v89, s42, v88
	v_lshlrev_b32_e32 v90, 4, v90
	v_accvgpr_write_b32 a16, v56
	v_lshrrev_b32_e32 v137, 28, v137
	v_ashrrev_i32_e32 v139, 31, v135
	ds_write_b16 v88, v84 offset:256
	v_add3_u32 v88, v88, s42, v90
	v_accvgpr_write_b32 a17, v57
	v_accvgpr_write_b32 a18, v58
	v_accvgpr_write_b32 a19, v59
	v_add_u32_e32 v137, v131, v137
	v_lshrrev_b32_e32 v139, 28, v139
	ds_write_b16 v88, v85 offset:256
	v_mfma_f32_16x16x16bf16_1k a[16:19], v[110:111], v[40:41], a[16:19]
	v_lshlrev_b32_e32 v40, 4, v125
	v_and_b32_e32 v137, -16, v137
	v_add_u32_e32 v139, v135, v139
	v_add3_u32 v40, v88, s42, v40
	v_lshlrev_b32_e32 v41, 4, v130
	s_movk_i32 s4, 0xd00
	v_accvgpr_write_b32 a20, v60
	v_sub_u32_e32 v131, v131, v137
	v_and_b32_e32 v139, -16, v139
	ds_write_b16 v40, v119 offset:3328
	v_add3_u32 v40, v40, s4, v41
	v_accvgpr_write_b32 a21, v61
	v_accvgpr_write_b32 a22, v62
	;; [unrolled: 1-line block ×3, first 2 shown]
	v_xor_b32_e32 v137, v131, v133
	v_sub_u32_e32 v135, v135, v139
	ds_write_b16 v40, v120 offset:256
	v_mfma_f32_16x16x16bf16_1k a[24:27], v[110:111], v[114:115], a[20:23]
	v_sub_u32_e32 v136, v137, v136
	v_xor_b32_e32 v133, v135, v133
	v_sub_u32_e32 v137, v133, v137
	v_xor_b32_e32 v84, v124, v116
	v_lshlrev_b32_e32 v56, 4, v136
	v_sub_u32_e32 v89, v84, v133
	v_add3_u32 v40, v40, s42, v56
	v_lshlrev_b32_e32 v56, 4, v137
	v_lshl_add_u32 v41, v89, 3, v222
	ds_write_b16 v40, v122 offset:256
	v_add3_u32 v40, v40, s42, v56
	ds_write_b16 v40, v129 offset:256
	v_mfma_f32_16x16x16bf16_1k a[20:23], v[108:109], v[42:43], a[16:19]
	v_xor_b32_e32 v42, v134, v116
	v_lshlrev_b32_e32 v56, 1, v41
	v_sub_u32_e32 v43, v42, v84
	v_add3_u32 v40, v40, s42, v56
	ds_write_b16 v40, v86
	v_lshl_add_u32 v40, v43, 4, v40
	ds_write_b16 v40, v87 offset:256
	v_mfma_f32_16x16x16bf16_1k a[16:19], v[108:109], v[46:47], a[24:27]
	v_accvgpr_write_b32 a28, v48
	v_accvgpr_write_b32 a29, v49
	;; [unrolled: 1-line block ×4, first 2 shown]
	v_lshlrev_b32_e32 v138, 3, v136
	v_lshlrev_b32_e32 v139, 3, v137
	v_add3_u32 v91, v91, v138, v139
	v_accvgpr_write_b32 a24, v52
	v_accvgpr_write_b32 a25, v53
	;; [unrolled: 1-line block ×4, first 2 shown]
	v_mfma_f32_16x16x16bf16_1k a[28:31], v[44:45], v[12:13], a[28:31]
	v_lshlrev_b32_e32 v43, 3, v43
	v_add3_u32 v41, v91, v41, v43
	v_xor_b32_e32 v43, v131, v116
	v_sub_u32_e32 v42, v43, v42
	v_lshlrev_b32_e32 v46, 3, v42
	v_add_lshl_u32 v41, v41, v46, 1
	v_lshlrev_b32_e32 v54, 1, v223
	v_mfma_f32_16x16x16bf16_1k a[24:27], v[44:45], v[14:15], a[24:27]
	v_lshlrev_b32_e32 v14, 4, v42
	v_add3_u32 v14, v40, s42, v14
	ds_write_b16 v14, v127 offset:256
	v_xor_b32_e32 v14, v135, v116
	v_sub_u32_e32 v14, v14, v43
	v_lshl_add_u32 v14, v14, 4, v41
	v_add_u32_e32 v40, v201, v54
	v_mfma_f32_16x16x16bf16_1k a[24:27], v[112:113], v[10:11], a[24:27]
	ds_write_b16 v14, v132 offset:14848
	s_waitcnt lgkmcnt(0)
	s_barrier
	ds_read_b128 v[12:15], v54 offset:8448
	ds_read_b128 v[50:53], v40
	ds_read_b32 v48, v231 offset:6144
	ds_read_b32 v49, v232 offset:6144
	v_mfma_f32_16x16x16bf16_1k a[28:31], v[112:113], v[8:9], a[28:31]
	ds_read_b32 v56, v233 offset:6144
	ds_read_b32 v57, v234 offset:6144
	;; [unrolled: 1-line block ×6, first 2 shown]
	ds_read_b128 v[44:47], v239 offset:8192
	ds_read_b128 v[40:43], v240 offset:8192
	v_add_u32_e32 v55, v223, v199
	; sched_group_barrier mask(0x00000008) size(1) SyncID(0)
	; sched_group_barrier mask(0x00000200) size(2) SyncID(0)
	;; [unrolled: 1-line block ×16, first 2 shown]
	; sched_barrier mask(0x00000000)
	s_waitcnt lgkmcnt(11)
	v_mfma_f32_16x16x16bf16_1k a[32:35], v[12:13], v[76:77], 0
	v_lshl_add_u32 v8, v199, 1, v54
	ds_read_b128 v[8:11], v8 offset:8448
	v_lshl_add_u32 v54, v55, 1, v202
	s_and_b32 s2, s2, -16
	ds_read_b32 v86, v237 offset:2048
	ds_read_b32 v87, v238 offset:2048
	s_add_i32 s22, s22, -1
	v_mfma_f32_16x16x16bf16_1k a[32:35], v[14:15], v[74:75], a[32:35]
	ds_read_b128 v[58:61], v54
	ds_read_b128 v[12:15], v239 offset:8320
	s_add_i32 s23, s23, 32
	s_add_i32 s24, s24, 2
	v_add_u32_e32 v223, v197, v55
	v_add_u32_e32 v245, 0x80, v245
	s_cmp_lg_u32 s22, 0
	s_waitcnt lgkmcnt(14)
	v_mfma_f32_16x16x16bf16_1k a[32:35], v[50:51], v[70:71], a[32:35]
	ds_read_b32 v90, v231 offset:2048
	; sched_group_barrier mask(0x00000008) size(1) SyncID(0)
	; sched_group_barrier mask(0x00000100) size(1) SyncID(0)
	; sched_group_barrier mask(0x00000008) size(1) SyncID(0)
	; sched_group_barrier mask(0x00000100) size(1) SyncID(0)
	; sched_group_barrier mask(0x00000008) size(1) SyncID(0)
	; sched_group_barrier mask(0x00000100) size(1) SyncID(0)
	v_mfma_f32_16x16x16bf16_1k a[32:35], v[52:53], v[78:79], a[32:35]
	ds_read_b32 v91, v232 offset:2048
	; sched_group_barrier mask(0x00000008) size(1) SyncID(0)
	; sched_group_barrier mask(0x00000100) size(1) SyncID(0)
	s_waitcnt lgkmcnt(6)
	v_mfma_f32_16x16x16bf16_1k a[32:35], v[8:9], v[68:69], a[32:35]
	ds_read_b32 v88, v233 offset:2048
	; sched_group_barrier mask(0x00000008) size(1) SyncID(0)
	; sched_group_barrier mask(0x00000100) size(1) SyncID(0)
	v_mfma_f32_16x16x16bf16_1k a[32:35], v[10:11], v[72:73], a[32:35]
	ds_read_b32 v89, v234 offset:2048
	ds_read_b128 v[8:11], v240 offset:8320
	; sched_group_barrier mask(0x00000008) size(1) SyncID(0)
	; sched_group_barrier mask(0x00000100) size(1) SyncID(0)
	s_waitcnt lgkmcnt(6)
	v_mfma_f32_16x16x16bf16_1k a[32:35], v[58:59], v[80:81], a[32:35]
	ds_read_b32 v84, v235 offset:2048
	; sched_group_barrier mask(0x00000008) size(1) SyncID(0)
	; sched_group_barrier mask(0x00000100) size(1) SyncID(0)
	v_mfma_f32_16x16x16bf16_1k a[32:35], v[60:61], v[82:83], a[32:35]
	ds_read_b32 v85, v236 offset:2048
	; sched_group_barrier mask(0x00000008) size(1) SyncID(0)
	; sched_group_barrier mask(0x00000100) size(1) SyncID(0)
	s_nop 7
	s_nop 1
	v_accvgpr_read_b32 v50, a32
	v_accvgpr_read_b32 v51, a34
	v_mul_f32_e32 v54, s59, v50
	v_mul_f32_e32 v58, s59, v51
	v_add3_u32 v51, v248, s2, 32
	v_and_or_b32 v50, s3, 16, v118
	v_mad_u64_u32 v[50:51], s[2:3], v51, s49, v[50:51]
	v_accvgpr_read_b32 v52, a33
	v_lshlrev_b32_e32 v51, 2, v50
	v_add_u32_e32 v50, s49, v50
	v_mul_f32_e32 v52, s59, v52
	buffer_atomic_add_f32 v54, v51, s[76:79], 0 offen
	v_lshlrev_b32_e32 v51, 2, v50
	v_add_u32_e32 v50, s49, v50
	v_accvgpr_read_b32 v53, a35
	buffer_atomic_add_f32 v52, v51, s[76:79], 0 offen
	v_lshlrev_b32_e32 v51, 2, v50
	v_mul_f32_e32 v53, s59, v53
	buffer_atomic_add_f32 v58, v51, s[76:79], 0 offen
	v_add_lshl_u32 v50, v50, s49, 2
	buffer_atomic_add_f32 v53, v50, s[76:79], 0 offen
	v_readlane_b32 s2, v254, 44
	v_add_u32_e32 v247, s2, v247
	v_readlane_b32 s2, v254, 46
	v_add_u32_e32 v246, s2, v246
	s_cbranch_scc0 .LBB1_19
.LBB1_16:                               ;   Parent Loop BB1_4 Depth=1
                                        ; =>  This Inner Loop Header: Depth=2
	v_add_u32_e32 v50, v242, v247
	buffer_load_dword v251, v50, s[72:75], 0 offen
	v_mfma_f32_16x16x16bf16_1k a[32:35], v[48:49], v[20:21], 0
	v_add_u32_e32 v50, v241, v247
	v_readlane_b32 s4, v254, 55
	buffer_load_dword v252, v50, s[72:75], 0 offen
	v_add_u32_e32 v50, v244, v246
	v_readlane_b32 s5, v254, 56
	v_readlane_b32 s6, v254, 57
	;; [unrolled: 1-line block ×3, first 2 shown]
	v_mfma_f32_16x16x16bf16_1k a[32:35], v[56:57], v[22:23], a[32:35]
	v_accvgpr_read_b32 v55, a27
	v_accvgpr_read_b32 v54, a26
	;; [unrolled: 1-line block ×4, first 2 shown]
	buffer_load_dword v249, v50, s[4:7], 0 offen
	v_add_u32_e32 v50, v243, v246
	v_accvgpr_read_b32 v51, a31
	v_mfma_f32_16x16x16bf16_1k a[36:39], v[48:49], v[16:17], 0
	buffer_load_dword v250, v50, s[4:7], 0 offen
	v_accvgpr_read_b32 v50, a30
	v_accvgpr_read_b32 v49, a29
	;; [unrolled: 1-line block ×6, first 2 shown]
	v_mfma_f32_16x16x16bf16_1k a[24:27], v[56:57], v[18:19], a[36:39]
	v_accvgpr_read_b32 v57, a21
	v_accvgpr_read_b32 v56, a20
	;; [unrolled: 1-line block ×7, first 2 shown]
	v_mfma_f32_16x16x16bf16_1k a[28:31], v[110:111], v[20:21], 0
	v_accvgpr_read_b32 v116, a34
	v_accvgpr_read_b32 v119, a35
	; sched_group_barrier mask(0x00000020) size(1) SyncID(0)
	; sched_group_barrier mask(0x00000008) size(1) SyncID(0)
	;; [unrolled: 1-line block ×16, first 2 shown]
	s_nop 0
	v_accvgpr_read_b32 v114, a24
	v_accvgpr_read_b32 v120, a27
	v_mfma_f32_16x16x16bf16_1k a[18:21], v[108:109], v[22:23], a[28:31]
	; sched_group_barrier mask(0x00000008) size(1) SyncID(0)
	; sched_group_barrier mask(0x00000100) size(1) SyncID(0)
	v_mfma_f32_16x16x16bf16_1k a[28:31], v[110:111], v[16:17], 0
	v_accvgpr_read_b32 v110, a25
	v_accvgpr_read_b32 v111, a26
	; sched_group_barrier mask(0x00000008) size(1) SyncID(0)
	; sched_group_barrier mask(0x00000100) size(1) SyncID(0)
	s_nop 7
	v_accvgpr_read_b32 v122, a18
	v_accvgpr_read_b32 v125, a19
	v_mfma_f32_16x16x16bf16_1k a[16:19], v[108:109], v[18:19], a[28:31]
	v_accvgpr_read_b32 v129, a20
	v_accvgpr_read_b32 v131, a21
	; sched_group_barrier mask(0x00000008) size(1) SyncID(0)
	; sched_group_barrier mask(0x00000100) size(1) SyncID(0)
	s_nop 7
	s_nop 0
	v_accvgpr_read_b32 v127, a17
	v_accvgpr_read_b32 v130, a18
	v_accvgpr_read_b32 v109, a16
	v_accvgpr_read_b32 v203, a19
	; sched_barrier mask(0x00000000)
	v_readfirstlane_b32 s2, v65
	s_lshl_b32 s3, s2, 4
	s_lshl_b32 s2, s2, 2
	v_add_u32_e32 v248, s23, v191
	s_and_b32 s2, s2, -16
	v_add_u32_e32 v253, s2, v248
	s_and_b32 s3, s3, 48
	v_add_u32_e32 v108, 32, v253
	s_add_i32 s4, s2, s23
	v_readlane_b32 s5, v254, 31
	v_cndmask_b32_e64 v108, 0, v108, s[0:1]
	v_add_u32_e32 v124, s3, v227
	v_add_u32_e32 v132, s4, v209
	s_add_i32 s3, s3, s5
	v_add_u32_e32 v112, v108, v124
	v_add_u32_e32 v205, 32, v132
	;; [unrolled: 1-line block ×3, first 2 shown]
	v_and_b32_e32 v112, 0xffff, v112
	v_and_b32_e32 v205, 0xffff, v205
	v_add_u32_e32 v108, v108, v133
	v_sad_u16 v112, v112, v205, 0
	v_and_b32_e32 v108, 0xffff, v108
	v_cvt_f32_u32_sdwa v112, v112 dst_sel:DWORD dst_unused:UNUSED_PAD src0_sel:WORD_0
	v_sad_u16 v108, v108, v205, 0
	v_cvt_f32_u32_sdwa v108, v108 dst_sel:DWORD dst_unused:UNUSED_PAD src0_sel:WORD_0
	v_add_u32_e32 v134, s3, v226
	v_mul_f32_e32 v112, v224, v112
	v_fmac_f32_e32 v112, s44, v113
	v_mul_f32_e32 v113, v224, v108
	v_add_u32_e32 v108, 33, v253
	v_cndmask_b32_e64 v108, 0, v108, s[0:1]
	v_fmac_f32_e32 v113, s44, v114
	v_add_u32_e32 v114, v108, v134
	v_add_u32_e32 v205, 33, v132
	v_and_b32_e32 v114, 0xffff, v114
	v_and_b32_e32 v205, 0xffff, v205
	v_add_u32_e32 v108, v108, v133
	v_sad_u16 v114, v114, v205, 0
	v_and_b32_e32 v108, 0xffff, v108
	v_cvt_f32_u32_sdwa v114, v114 dst_sel:DWORD dst_unused:UNUSED_PAD src0_sel:WORD_0
	v_sad_u16 v108, v108, v205, 0
	v_cvt_f32_u32_sdwa v108, v108 dst_sel:DWORD dst_unused:UNUSED_PAD src0_sel:WORD_0
	v_add_u32_e32 v205, 34, v132
	v_mul_f32_e32 v114, v224, v114
	v_fmac_f32_e32 v114, s44, v115
	v_mul_f32_e32 v115, v224, v108
	v_add_u32_e32 v108, 34, v253
	v_cndmask_b32_e64 v108, 0, v108, s[0:1]
	v_fmac_f32_e32 v115, s44, v110
	v_add_u32_e32 v110, v108, v134
	v_add_u32_e32 v108, v108, v133
	v_and_b32_e32 v206, 0xffff, v205
	v_and_b32_e32 v108, 0xffff, v108
	;; [unrolled: 1-line block ×3, first 2 shown]
	v_sad_u16 v108, v108, v206, 0
	v_sad_u16 v110, v110, v206, 0
	v_cvt_f32_u32_sdwa v108, v108 dst_sel:DWORD dst_unused:UNUSED_PAD src0_sel:WORD_0
	v_cvt_f32_u32_sdwa v110, v110 dst_sel:DWORD dst_unused:UNUSED_PAD src0_sel:WORD_0
	v_add_u32_e32 v135, s4, v212
	v_add_u32_e32 v136, 32, v135
	v_mul_f32_e32 v206, v224, v108
	v_add_u32_e32 v108, s23, v194
	v_mul_f32_e32 v205, v224, v110
	v_add_u32_e32 v110, s2, v108
	v_fmac_f32_e32 v206, s44, v111
	v_add_u32_e32 v111, 32, v110
	v_cndmask_b32_e64 v111, 0, v111, s[0:1]
	v_fmac_f32_e32 v205, s44, v116
	v_add_u32_e32 v116, v111, v134
	v_and_b32_e32 v116, 0xffff, v116
	v_and_b32_e32 v136, 0xffff, v136
	v_add_u32_e32 v111, v111, v133
	v_sad_u16 v116, v116, v136, 0
	v_and_b32_e32 v111, 0xffff, v111
	v_cvt_f32_u32_sdwa v116, v116 dst_sel:DWORD dst_unused:UNUSED_PAD src0_sel:WORD_0
	v_sad_u16 v111, v111, v136, 0
	v_cvt_f32_u32_sdwa v111, v111 dst_sel:DWORD dst_unused:UNUSED_PAD src0_sel:WORD_0
	s_add_i32 s2, s41, s23
	v_mul_f32_e32 v116, v224, v116
	v_fmac_f32_e32 v116, s44, v119
	v_mul_f32_e32 v119, v224, v111
	v_add_u32_e32 v111, 48, v253
	v_cndmask_b32_e64 v111, 0, v111, s[0:1]
	v_fmac_f32_e32 v119, s44, v120
	v_add_u32_e32 v120, v111, v124
	v_add_u32_e32 v124, 48, v132
	v_and_b32_e32 v120, 0xffff, v120
	v_and_b32_e32 v124, 0xffff, v124
	v_add_u32_e32 v111, v111, v133
	v_sad_u16 v120, v120, v124, 0
	v_and_b32_e32 v111, 0xffff, v111
	v_cvt_f32_u32_sdwa v120, v120 dst_sel:DWORD dst_unused:UNUSED_PAD src0_sel:WORD_0
	v_sad_u16 v111, v111, v124, 0
	v_cvt_f32_u32_sdwa v111, v111 dst_sel:DWORD dst_unused:UNUSED_PAD src0_sel:WORD_0
	v_add_u32_e32 v124, 49, v132
	v_mul_f32_e32 v120, v224, v120
	v_fmac_f32_e32 v120, s44, v122
	v_mul_f32_e32 v122, v224, v111
	v_fmac_f32_e32 v122, s44, v109
	v_add_u32_e32 v109, 49, v253
	v_cndmask_b32_e64 v109, 0, v109, s[0:1]
	v_add_u32_e32 v111, v109, v134
	v_and_b32_e32 v111, 0xffff, v111
	v_and_b32_e32 v136, 0xffff, v124
	v_add_u32_e32 v109, v109, v133
	v_sad_u16 v111, v111, v136, 0
	v_and_b32_e32 v109, 0xffff, v109
	v_cvt_f32_u32_sdwa v111, v111 dst_sel:DWORD dst_unused:UNUSED_PAD src0_sel:WORD_0
	v_sad_u16 v109, v109, v136, 0
	v_cvt_f32_u32_sdwa v109, v109 dst_sel:DWORD dst_unused:UNUSED_PAD src0_sel:WORD_0
	s_add_i32 s2, s2, 32
	v_mul_f32_e32 v124, v224, v111
	v_fmac_f32_e32 v124, s44, v125
	v_mul_f32_e32 v125, v224, v109
	v_add_u32_e32 v109, 50, v253
	v_cndmask_b32_e64 v109, 0, v109, s[0:1]
	v_fmac_f32_e32 v125, s44, v127
	v_add_u32_e32 v111, v109, v134
	v_add_u32_e32 v127, 50, v132
	v_and_b32_e32 v111, 0xffff, v111
	v_and_b32_e32 v132, 0xffff, v127
	v_add_u32_e32 v109, v109, v133
	v_sad_u16 v111, v111, v132, 0
	v_and_b32_e32 v109, 0xffff, v109
	v_cvt_f32_u32_sdwa v111, v111 dst_sel:DWORD dst_unused:UNUSED_PAD src0_sel:WORD_0
	v_sad_u16 v109, v109, v132, 0
	v_cvt_f32_u32_sdwa v109, v109 dst_sel:DWORD dst_unused:UNUSED_PAD src0_sel:WORD_0
	s_add_i32 s4, s23, 64
	v_mul_f32_e32 v127, v224, v111
	v_fmac_f32_e32 v127, s44, v129
	v_mul_f32_e32 v129, v224, v109
	v_add_u32_e32 v109, 48, v110
	v_cndmask_b32_e64 v109, 0, v109, s[0:1]
	v_add_u32_e32 v110, v109, v134
	v_add_u32_e32 v111, 48, v135
	v_and_b32_e32 v110, 0xffff, v110
	v_and_b32_e32 v111, 0xffff, v111
	v_add_u32_e32 v109, v109, v133
	v_sad_u16 v110, v110, v111, 0
	v_and_b32_e32 v109, 0xffff, v109
	v_cvt_f32_u32_sdwa v110, v110 dst_sel:DWORD dst_unused:UNUSED_PAD src0_sel:WORD_0
	v_sad_u16 v109, v109, v111, 0
	v_cvt_f32_u32_sdwa v109, v109 dst_sel:DWORD dst_unused:UNUSED_PAD src0_sel:WORD_0
	s_min_i32 s2, s2, s35
	s_cmp_gt_i32 s68, s2
	s_cselect_b64 s[2:3], -1, 0
	s_cmp_gt_i32 s4, s69
	v_fmac_f32_e32 v129, s44, v130
	v_mul_f32_e32 v130, v224, v110
	s_cselect_b64 s[4:5], -1, 0
	v_fmac_f32_e32 v130, s44, v131
	v_mul_f32_e32 v131, v224, v109
	s_or_b64 s[2:3], s[2:3], s[4:5]
	v_fmac_f32_e32 v131, s44, v203
	s_andn2_b64 vcc, exec, s[2:3]
	s_cbranch_vccnz .LBB1_15
; %bb.17:                               ;   in Loop: Header=BB1_16 Depth=2
	v_readfirstlane_b32 s2, v65
	s_lshl_b32 s3, s2, 4
	s_lshl_b32 s2, s2, 2
	s_and_b32 s6, s2, -16
	s_add_i32 s7, s6, s23
	v_add_u32_e32 v134, s7, v207
	v_and_or_b32 v109, s3, 48, v118
	v_add_u32_e32 v110, s6, v248
	v_add_u32_e32 v135, 32, v134
	;; [unrolled: 1-line block ×5, first 2 shown]
	v_min_i32_e32 v135, s35, v135
	v_add_u32_e32 v133, 32, v132
	v_cmp_gt_i32_e64 s[2:3], v135, v109
	v_cmp_gt_i32_e64 s[4:5], s34, v111
	v_cmp_lt_i32_e32 vcc, v133, v109
	s_and_b64 s[2:3], s[2:3], s[4:5]
	v_add_u32_e32 v111, 64, v109
	s_and_b64 vcc, s[2:3], vcc
	v_cmp_gt_i32_e64 s[2:3], v135, v111
	v_add_u32_e32 v136, 33, v134
	v_cndmask_b32_e32 v112, v221, v112, vcc
	v_cmp_lt_i32_e32 vcc, v133, v111
	s_and_b64 s[2:3], s[2:3], s[4:5]
	v_add_u32_e32 v133, 33, v110
	v_min_i32_e32 v136, s35, v136
	s_and_b64 vcc, s[2:3], vcc
	v_add_u32_e32 v135, 33, v132
	v_cmp_gt_i32_e64 s[2:3], v136, v109
	v_cmp_gt_i32_e64 s[4:5], s34, v133
	v_cndmask_b32_e32 v113, v221, v113, vcc
	v_cmp_lt_i32_e32 vcc, v135, v109
	s_and_b64 s[2:3], s[2:3], s[4:5]
	s_and_b64 vcc, s[2:3], vcc
	v_cmp_gt_i32_e64 s[2:3], v136, v111
	v_add_u32_e32 v136, 34, v134
	v_cndmask_b32_e32 v114, v221, v114, vcc
	v_cmp_lt_i32_e32 vcc, v135, v111
	s_and_b64 s[2:3], s[2:3], s[4:5]
	v_add_u32_e32 v133, 34, v110
	v_min_i32_e32 v136, s35, v136
	s_and_b64 vcc, s[2:3], vcc
	v_add_u32_e32 v135, 34, v132
	v_cmp_gt_i32_e64 s[2:3], v136, v109
	v_cmp_gt_i32_e64 s[4:5], s34, v133
	v_cndmask_b32_e32 v115, v221, v115, vcc
	v_cmp_lt_i32_e32 vcc, v135, v109
	s_and_b64 s[2:3], s[2:3], s[4:5]
	v_add_u32_e32 v203, s7, v210
	s_and_b64 vcc, s[2:3], vcc
	v_cmp_gt_i32_e64 s[2:3], v136, v111
	v_add_u32_e32 v108, s6, v108
	v_add_u32_e32 v253, 32, v203
	v_cndmask_b32_e32 v205, v221, v205, vcc
	v_cmp_lt_i32_e32 vcc, v135, v111
	s_and_b64 s[2:3], s[2:3], s[4:5]
	v_add_u32_e32 v133, 32, v108
	v_add_u32_e32 v135, s7, v211
	v_min_i32_e32 v253, s35, v253
	s_and_b64 vcc, s[2:3], vcc
	v_add_u32_e32 v136, 32, v135
	v_cmp_gt_i32_e64 s[2:3], v253, v109
	v_cmp_gt_i32_e64 s[4:5], s34, v133
	v_cndmask_b32_e32 v206, v221, v206, vcc
	v_cmp_lt_i32_e32 vcc, v136, v109
	s_and_b64 s[2:3], s[2:3], s[4:5]
	s_and_b64 vcc, s[2:3], vcc
	v_cmp_gt_i32_e64 s[2:3], v253, v111
	v_add_u32_e32 v253, 48, v134
	v_cndmask_b32_e32 v116, v221, v116, vcc
	v_cmp_lt_i32_e32 vcc, v136, v111
	s_and_b64 s[2:3], s[2:3], s[4:5]
	v_add_u32_e32 v133, 48, v110
	v_min_i32_e32 v253, s35, v253
	s_and_b64 vcc, s[2:3], vcc
	v_add_u32_e32 v136, 48, v132
	v_cmp_gt_i32_e64 s[2:3], v253, v109
	v_cmp_gt_i32_e64 s[4:5], s34, v133
	v_cndmask_b32_e32 v119, v221, v119, vcc
	v_cmp_lt_i32_e32 vcc, v136, v109
	s_and_b64 s[2:3], s[2:3], s[4:5]
	s_and_b64 vcc, s[2:3], vcc
	v_cmp_gt_i32_e64 s[2:3], v253, v111
	v_add_u32_e32 v253, 49, v134
	v_cndmask_b32_e32 v120, v221, v120, vcc
	v_cmp_lt_i32_e32 vcc, v136, v111
	s_and_b64 s[2:3], s[2:3], s[4:5]
	v_add_u32_e32 v133, 49, v110
	v_min_i32_e32 v253, s35, v253
	s_and_b64 vcc, s[2:3], vcc
	v_add_u32_e32 v136, 49, v132
	v_cmp_gt_i32_e64 s[2:3], v253, v109
	v_cmp_gt_i32_e64 s[4:5], s34, v133
	v_cndmask_b32_e32 v122, v221, v122, vcc
	v_cmp_lt_i32_e32 vcc, v136, v109
	s_and_b64 s[2:3], s[2:3], s[4:5]
	s_and_b64 vcc, s[2:3], vcc
	v_cmp_gt_i32_e64 s[2:3], v253, v111
	v_add_u32_e32 v133, 50, v134
	v_cndmask_b32_e32 v124, v221, v124, vcc
	v_cmp_lt_i32_e32 vcc, v136, v111
	s_and_b64 s[2:3], s[2:3], s[4:5]
	v_add_u32_e32 v110, 50, v110
	v_min_i32_e32 v133, s35, v133
	s_and_b64 vcc, s[2:3], vcc
	v_add_u32_e32 v132, 50, v132
	v_cmp_gt_i32_e64 s[2:3], v133, v109
	v_cmp_gt_i32_e64 s[4:5], s34, v110
	v_cndmask_b32_e32 v125, v221, v125, vcc
	v_cmp_lt_i32_e32 vcc, v132, v109
	s_and_b64 s[2:3], s[2:3], s[4:5]
	s_and_b64 vcc, s[2:3], vcc
	v_cndmask_b32_e32 v127, v221, v127, vcc
	v_cmp_lt_i32_e32 vcc, v132, v111
	v_cmp_gt_i32_e64 s[2:3], v133, v111
	v_add_u32_e32 v132, 48, v203
	s_and_b64 s[2:3], s[2:3], s[4:5]
	v_add_u32_e32 v108, 48, v108
	v_min_i32_e32 v132, s35, v132
	s_and_b64 vcc, s[2:3], vcc
	v_add_u32_e32 v110, 48, v135
	v_cmp_gt_i32_e64 s[2:3], v132, v109
	v_cmp_gt_i32_e64 s[4:5], s34, v108
	v_cndmask_b32_e32 v129, v221, v129, vcc
	v_cmp_lt_i32_e32 vcc, v110, v109
	s_and_b64 s[2:3], s[2:3], s[4:5]
	s_and_b64 vcc, s[2:3], vcc
	v_cmp_gt_i32_e64 s[2:3], v132, v111
	v_cndmask_b32_e32 v130, v221, v130, vcc
	v_cmp_lt_i32_e32 vcc, v110, v111
	s_and_b64 s[2:3], s[2:3], s[4:5]
	s_and_b64 vcc, s[2:3], vcc
	v_cndmask_b32_e32 v131, v221, v131, vcc
	s_branch .LBB1_15
.LBB1_18:                               ;   in Loop: Header=BB1_4 Depth=1
	s_mov_b64 s[2:3], -1
                                        ; implicit-def: $agpr19
                                        ; implicit-def: $agpr7
                                        ; implicit-def: $agpr23
                                        ; implicit-def: $agpr3
                                        ; implicit-def: $agpr31
                                        ; implicit-def: $agpr15
                                        ; implicit-def: $agpr27
                                        ; implicit-def: $agpr11
                                        ; implicit-def: $vgpr91
                                        ; implicit-def: $vgpr89
                                        ; implicit-def: $vgpr85
                                        ; implicit-def: $vgpr87
                                        ; implicit-def: $vgpr49
                                        ; implicit-def: $vgpr57
                                        ; implicit-def: $vgpr111
                                        ; implicit-def: $vgpr109
                                        ; implicit-def: $vgpr223
                                        ; implicit-def: $sgpr6
                                        ; implicit-def: $vgpr44
                                        ; implicit-def: $vgpr40
                                        ; implicit-def: $vgpr12
                                        ; implicit-def: $vgpr8
                                        ; implicit-def: $sgpr4
                                        ; implicit-def: $vgpr227
                                        ; implicit-def: $vgpr225
                                        ; implicit-def: $vgpr226
                                        ; implicit-def: $sgpr68
                                        ; implicit-def: $sgpr69
	s_branch .LBB1_20
.LBB1_19:                               ;   in Loop: Header=BB1_4 Depth=1
	s_add_i32 s6, s23, 32
	s_add_i32 s4, s23, 64
	s_mov_b64 s[2:3], 0
	s_mov_b32 s53, s31
	s_mov_b32 s23, s30
	v_readlane_b32 s57, v255, 25
	v_readlane_b32 s66, v255, 23
	s_mov_b32 s71, s29
	v_accvgpr_read_b32 v112, a40
	v_accvgpr_read_b32 v113, a41
	;; [unrolled: 1-line block ×28, first 2 shown]
.LBB1_20:                               ;   in Loop: Header=BB1_4 Depth=1
	s_and_b64 vcc, exec, s[2:3]
	v_readlane_b32 s31, v255, 35
	s_cbranch_vccz .LBB1_22
; %bb.21:                               ;   in Loop: Header=BB1_4 Depth=1
	s_add_i32 s4, s14, 32
	v_add_u32_e32 v225, s54, v190
	s_add_i32 s68, s54, 0x80
	s_min_i32 s69, s71, s34
	v_accvgpr_write_b32 a19, 0
	v_accvgpr_write_b32 a18, 0
	;; [unrolled: 1-line block ×32, first 2 shown]
	v_mov_b32_e32 v226, v230
	v_mov_b32_e32 v227, v229
	s_waitcnt lgkmcnt(0)
	v_mov_b32_e32 v11, v39
	v_mov_b32_e32 v10, v38
	;; [unrolled: 1-line block ×16, first 2 shown]
	s_mov_b32 s6, s14
	v_mov_b32_e32 v223, v228
	v_mov_b32_e32 v108, v105
	;; [unrolled: 1-line block ×17, first 2 shown]
.LBB1_22:                               ;   in Loop: Header=BB1_4 Depth=1
	s_waitcnt lgkmcnt(3)
	v_accvgpr_read_b32 v27, a31
	v_accvgpr_read_b32 v26, a30
	;; [unrolled: 1-line block ×4, first 2 shown]
	s_waitcnt lgkmcnt(1)
	v_accvgpr_read_b32 v31, a15
	v_accvgpr_read_b32 v30, a14
	;; [unrolled: 1-line block ×8, first 2 shown]
	; sched_barrier mask(0x00000000)
	v_mfma_f32_16x16x16bf16_1k a[12:15], v[48:49], v[20:21], 0
	v_readfirstlane_b32 s2, v65
	s_and_b32 s5, s2, 0x3ffffffc
	s_lshl_b32 s3, s2, 4
	s_and_b32 s3, s3, 48
	v_add_u32_e32 v62, s3, v227
	v_readlane_b32 s7, v254, 39
	s_lshl_b32 s2, s2, 2
	v_mfma_f32_16x16x16bf16_1k a[12:15], v[56:57], v[22:23], a[12:15]
	s_and_b32 s2, s2, -16
	v_add_u32_e32 v53, s6, v192
	v_add_u32_e32 v54, s6, v193
	;; [unrolled: 1-line block ×3, first 2 shown]
	s_mov_b32 s28, s23
	s_waitcnt lgkmcnt(0)
	s_nop 4
	v_accvgpr_read_b32 v36, a12
	v_accvgpr_read_b32 v37, a13
	;; [unrolled: 1-line block ×4, first 2 shown]
	v_mfma_f32_16x16x16bf16_1k a[12:15], v[48:49], v[16:17], 0
	v_mfma_f32_16x16x16bf16_1k a[12:15], v[56:57], v[18:19], a[12:15]
	s_nop 7
	s_nop 2
	v_accvgpr_read_b32 v48, a12
	v_accvgpr_read_b32 v49, a13
	v_accvgpr_read_b32 v50, a14
	v_accvgpr_read_b32 v51, a15
	v_mfma_f32_16x16x16bf16_1k a[12:15], v[110:111], v[20:21], 0
	v_mfma_f32_16x16x16bf16_1k a[12:15], v[108:109], v[22:23], a[12:15]
	s_nop 7
	s_nop 2
	v_accvgpr_read_b32 v52, a12
	v_accvgpr_read_b32 v56, a13
	;; [unrolled: 1-line block ×4, first 2 shown]
	v_mfma_f32_16x16x16bf16_1k a[12:15], v[110:111], v[16:17], 0
	v_add_u32_e32 v17, s5, v117
	v_lshl_add_u32 v17, v17, 2, s6
	v_readlane_b32 s5, v254, 31
	s_add_i32 s3, s3, s5
	v_add_u32_e32 v63, s3, v225
	v_add_u32_e32 v92, s3, v226
	s_or_b32 s3, s6, 16
	v_mfma_f32_16x16x16bf16_1k a[12:15], v[108:109], v[18:19], a[12:15]
	v_cndmask_b32_e64 v18, 0, v17, s[0:1]
	v_add_u32_e32 v19, v18, v62
	v_add_u32_e32 v17, s7, v17
	v_and_b32_e32 v19, 0xffff, v19
	v_and_b32_e32 v20, 0xffff, v17
	v_add_u32_e32 v18, v18, v63
	v_sad_u16 v17, v19, v20, 0
	v_and_b32_e32 v18, 0xffff, v18
	v_add_u32_e32 v19, s2, v53
	v_sad_u16 v18, v18, v20, 0
	v_cndmask_b32_e64 v20, 0, v19, s[0:1]
	v_cvt_f32_u32_sdwa v17, v17 dst_sel:DWORD dst_unused:UNUSED_PAD src0_sel:WORD_0
	v_add_u32_e32 v21, v20, v92
	v_add_u32_e32 v19, s7, v19
	v_and_b32_e32 v21, 0xffff, v21
	v_and_b32_e32 v22, 0xffff, v19
	v_add_u32_e32 v20, v20, v63
	v_sad_u16 v19, v21, v22, 0
	v_and_b32_e32 v20, 0xffff, v20
	v_add_u32_e32 v21, s2, v54
	v_sad_u16 v20, v20, v22, 0
	v_cndmask_b32_e64 v22, 0, v21, s[0:1]
	v_mul_f32_e32 v17, v224, v17
	v_add_u32_e32 v23, v22, v92
	v_add_u32_e32 v21, s7, v21
	v_fmac_f32_e32 v17, s44, v36
	v_and_b32_e32 v23, 0xffff, v23
	v_and_b32_e32 v36, 0xffff, v21
	v_cvt_f32_u32_sdwa v19, v19 dst_sel:DWORD dst_unused:UNUSED_PAD src0_sel:WORD_0
	v_sad_u16 v21, v23, v36, 0
	v_cvt_f32_u32_sdwa v21, v21 dst_sel:DWORD dst_unused:UNUSED_PAD src0_sel:WORD_0
	v_add_u32_e32 v22, v22, v63
	v_and_b32_e32 v22, 0xffff, v22
	v_add_u32_e32 v23, s2, v55
	v_mul_f32_e32 v19, v224, v19
	v_sad_u16 v22, v22, v36, 0
	v_cndmask_b32_e64 v36, 0, v23, s[0:1]
	v_fmac_f32_e32 v19, s44, v37
	v_mul_f32_e32 v21, v224, v21
	v_add_u32_e32 v37, v36, v92
	v_add_u32_e32 v23, s7, v23
	v_fmac_f32_e32 v21, s44, v38
	v_and_b32_e32 v37, 0xffff, v37
	v_and_b32_e32 v38, 0xffff, v23
	v_sad_u16 v23, v37, v38, 0
	v_cvt_f32_u32_sdwa v23, v23 dst_sel:DWORD dst_unused:UNUSED_PAD src0_sel:WORD_0
	v_cvt_f32_u32_sdwa v18, v18 dst_sel:DWORD dst_unused:UNUSED_PAD src0_sel:WORD_0
	v_add_u32_e32 v36, v36, v63
	s_add_i32 s5, s2, s3
	v_and_b32_e32 v36, 0xffff, v36
	v_add_u32_e32 v37, s5, v191
	v_mul_f32_e32 v23, v224, v23
	v_sad_u16 v36, v36, v38, 0
	v_cndmask_b32_e64 v38, 0, v37, s[0:1]
	v_mul_f32_e32 v18, v224, v18
	v_fmac_f32_e32 v23, s44, v39
	v_add_u32_e32 v39, v38, v62
	v_add_u32_e32 v37, s7, v37
	;; [unrolled: 1-line block ×3, first 2 shown]
	v_fmac_f32_e32 v18, s44, v48
	v_and_b32_e32 v48, 0xffff, v37
	v_and_b32_e32 v38, 0xffff, v38
	v_sad_u16 v38, v38, v48, 0
	v_cvt_f32_u32_sdwa v38, v38 dst_sel:DWORD dst_unused:UNUSED_PAD src0_sel:WORD_0
	v_cvt_f32_u32_sdwa v20, v20 dst_sel:DWORD dst_unused:UNUSED_PAD src0_sel:WORD_0
	v_accvgpr_read_b32 v16, a12
	v_cvt_f32_u32_sdwa v22, v22 dst_sel:DWORD dst_unused:UNUSED_PAD src0_sel:WORD_0
	v_mul_f32_e32 v38, v224, v38
	v_mul_f32_e32 v20, v224, v20
	v_cvt_f32_u32_sdwa v36, v36 dst_sel:DWORD dst_unused:UNUSED_PAD src0_sel:WORD_0
	v_fmac_f32_e32 v38, s44, v16
	v_add_u32_e32 v16, s6, v191
	v_fmac_f32_e32 v20, s44, v49
	v_and_b32_e32 v39, 0xffff, v39
	v_add_u32_e32 v49, s2, v16
	v_sad_u16 v37, v39, v48, 0
	v_add_u32_e32 v39, 17, v49
	v_mul_f32_e32 v22, v224, v22
	v_cvt_f32_u32_sdwa v37, v37 dst_sel:DWORD dst_unused:UNUSED_PAD src0_sel:WORD_0
	v_cndmask_b32_e64 v48, 0, v39, s[0:1]
	v_fmac_f32_e32 v22, s44, v50
	v_mul_f32_e32 v36, v224, v36
	v_add_u32_e32 v50, v48, v92
	v_add_u32_e32 v39, s7, v39
	v_fmac_f32_e32 v36, s44, v51
	v_and_b32_e32 v50, 0xffff, v50
	v_and_b32_e32 v51, 0xffff, v39
	v_add_u32_e32 v48, v48, v63
	v_add_u32_e32 v49, 18, v49
	v_sad_u16 v39, v50, v51, 0
	v_and_b32_e32 v48, 0xffff, v48
	v_cndmask_b32_e64 v50, 0, v49, s[0:1]
	v_mul_f32_e32 v37, v224, v37
	v_cvt_f32_u32_sdwa v39, v39 dst_sel:DWORD dst_unused:UNUSED_PAD src0_sel:WORD_0
	v_sad_u16 v48, v48, v51, 0
	v_add_u32_e32 v51, v50, v92
	v_add_u32_e32 v49, s7, v49
	v_fmac_f32_e32 v37, s44, v52
	v_and_b32_e32 v51, 0xffff, v51
	v_and_b32_e32 v52, 0xffff, v49
	v_sad_u16 v49, v51, v52, 0
	v_cvt_f32_u32_sdwa v49, v49 dst_sel:DWORD dst_unused:UNUSED_PAD src0_sel:WORD_0
	v_mul_f32_e32 v39, v224, v39
	v_cvt_f32_u32_sdwa v48, v48 dst_sel:DWORD dst_unused:UNUSED_PAD src0_sel:WORD_0
	v_fmac_f32_e32 v39, s44, v56
	v_add_u32_e32 v50, v50, v63
	v_add_u32_e32 v56, s3, v194
	v_and_b32_e32 v50, 0xffff, v50
	v_add_u32_e32 v51, s2, v56
	v_mul_f32_e32 v49, v224, v49
	v_sad_u16 v50, v50, v52, 0
	v_cndmask_b32_e64 v52, 0, v51, s[0:1]
	v_accvgpr_read_b32 v59, a13
	v_mul_f32_e32 v48, v224, v48
	v_fmac_f32_e32 v49, s44, v57
	v_add_u32_e32 v57, v52, v92
	v_add_u32_e32 v51, s7, v51
	;; [unrolled: 1-line block ×3, first 2 shown]
	v_fmac_f32_e32 v48, s44, v59
	v_and_b32_e32 v57, 0xffff, v57
	v_and_b32_e32 v59, 0xffff, v51
	;; [unrolled: 1-line block ×3, first 2 shown]
	v_sad_u16 v51, v57, v59, 0
	v_sad_u16 v52, v52, v59, 0
	s_add_i32 s2, s6, s41
	v_cvt_f32_u32_sdwa v50, v50 dst_sel:DWORD dst_unused:UNUSED_PAD src0_sel:WORD_0
	v_cvt_f32_u32_sdwa v51, v51 dst_sel:DWORD dst_unused:UNUSED_PAD src0_sel:WORD_0
	v_cvt_f32_u32_sdwa v52, v52 dst_sel:DWORD dst_unused:UNUSED_PAD src0_sel:WORD_0
	s_min_i32 s2, s2, s35
	s_cmp_gt_i32 s68, s2
	s_cselect_b64 s[2:3], -1, 0
	s_cmp_gt_i32 s4, s69
	s_cselect_b64 s[4:5], -1, 0
	v_accvgpr_read_b32 v60, a14
	v_accvgpr_read_b32 v61, a15
	v_mul_f32_e32 v50, v224, v50
	v_mul_f32_e32 v51, v224, v51
	;; [unrolled: 1-line block ×3, first 2 shown]
	s_or_b64 s[2:3], s[2:3], s[4:5]
	v_fmac_f32_e32 v50, s44, v60
	v_fmac_f32_e32 v51, s44, v58
	;; [unrolled: 1-line block ×3, first 2 shown]
	s_andn2_b64 vcc, exec, s[2:3]
	s_cbranch_vccnz .LBB1_24
; %bb.23:                               ;   in Loop: Header=BB1_4 Depth=1
	v_readfirstlane_b32 s7, v65
	s_lshl_b32 s2, s7, 4
	v_and_or_b32 v57, s2, 48, v118
	s_and_b32 s2, s7, 0x3ffffffc
	v_add_u32_e32 v58, s2, v117
	v_lshl_add_u32 v58, v58, 2, s6
	v_add_u32_e32 v60, s41, v58
	v_add_u32_e32 v57, s54, v57
	v_readlane_b32 s8, v254, 38
	v_min_i32_e32 v60, s35, v60
	v_subrev_u32_e32 v59, s8, v58
	v_cmp_gt_i32_e64 s[2:3], v60, v57
	v_cmp_gt_i32_e64 s[4:5], s34, v58
	v_cmp_lt_i32_e32 vcc, v59, v57
	s_and_b64 s[2:3], s[2:3], s[4:5]
	v_add_u32_e32 v61, 64, v57
	s_and_b64 vcc, s[2:3], vcc
	v_cmp_gt_i32_e64 s[2:3], v60, v61
	v_cndmask_b32_e32 v17, v221, v17, vcc
	v_cmp_lt_i32_e32 vcc, v59, v61
	s_and_b64 s[2:3], s[2:3], s[4:5]
	s_and_b64 vcc, s[2:3], vcc
	s_lshl_b32 s2, s7, 2
	s_and_b32 s7, s2, -16
	v_add_u32_e32 v53, s7, v53
	v_add_u32_e32 v60, s41, v53
	v_min_i32_e32 v60, s35, v60
	v_subrev_u32_e32 v59, s8, v53
	v_cmp_gt_i32_e64 s[2:3], v60, v57
	v_cmp_gt_i32_e64 s[4:5], s34, v53
	v_cndmask_b32_e32 v18, v221, v18, vcc
	v_cmp_lt_i32_e32 vcc, v59, v57
	s_and_b64 s[2:3], s[2:3], s[4:5]
	s_and_b64 vcc, s[2:3], vcc
	v_add_u32_e32 v53, s7, v54
	v_cndmask_b32_e32 v19, v221, v19, vcc
	v_cmp_lt_i32_e32 vcc, v59, v61
	v_cmp_gt_i32_e64 s[2:3], v60, v61
	v_add_u32_e32 v59, s41, v53
	s_and_b64 s[2:3], s[2:3], s[4:5]
	v_min_i32_e32 v59, s35, v59
	s_and_b64 vcc, s[2:3], vcc
	v_subrev_u32_e32 v54, s8, v53
	v_cmp_gt_i32_e64 s[2:3], v59, v57
	v_cmp_gt_i32_e64 s[4:5], s34, v53
	v_cndmask_b32_e32 v20, v221, v20, vcc
	v_cmp_lt_i32_e32 vcc, v54, v57
	s_and_b64 s[2:3], s[2:3], s[4:5]
	v_add_u32_e32 v53, s7, v55
	s_and_b64 vcc, s[2:3], vcc
	v_cmp_gt_i32_e64 s[2:3], v59, v61
	v_add_u32_e32 v55, s41, v53
	v_cndmask_b32_e32 v21, v221, v21, vcc
	v_cmp_lt_i32_e32 vcc, v54, v61
	s_and_b64 s[2:3], s[2:3], s[4:5]
	v_min_i32_e32 v55, s35, v55
	s_and_b64 vcc, s[2:3], vcc
	v_subrev_u32_e32 v54, s8, v53
	v_cmp_gt_i32_e64 s[2:3], v55, v57
	v_cmp_gt_i32_e64 s[4:5], s34, v53
	v_cndmask_b32_e32 v22, v221, v22, vcc
	v_cmp_lt_i32_e32 vcc, v54, v57
	s_and_b64 s[2:3], s[2:3], s[4:5]
	v_add_u32_e32 v53, 16, v58
	s_and_b64 vcc, s[2:3], vcc
	v_cmp_gt_i32_e64 s[2:3], v55, v61
	v_add_u32_e32 v55, s41, v53
	v_cndmask_b32_e32 v23, v221, v23, vcc
	v_cmp_lt_i32_e32 vcc, v54, v61
	;; [unrolled: 15-line block ×5, first 2 shown]
	s_and_b64 s[2:3], s[2:3], s[4:5]
	v_min_i32_e32 v55, s35, v55
	s_and_b64 vcc, s[2:3], vcc
	v_subrev_u32_e32 v54, s8, v53
	v_cmp_gt_i32_e64 s[2:3], v55, v57
	v_cmp_gt_i32_e64 s[4:5], s34, v53
	v_cndmask_b32_e32 v50, v221, v50, vcc
	v_cmp_lt_i32_e32 vcc, v54, v57
	s_and_b64 s[2:3], s[2:3], s[4:5]
	s_and_b64 vcc, s[2:3], vcc
	v_cmp_gt_i32_e64 s[2:3], v55, v61
	v_cndmask_b32_e32 v51, v221, v51, vcc
	v_cmp_lt_i32_e32 vcc, v54, v61
	s_and_b64 s[2:3], s[2:3], s[4:5]
	s_and_b64 vcc, s[2:3], vcc
	v_cndmask_b32_e32 v52, v221, v52, vcc
.LBB1_24:                               ;   in Loop: Header=BB1_4 Depth=1
	v_mul_f32_e32 v53, 0x3fb8aa3b, v44
	v_cmp_neq_f32_e32 vcc, s65, v44
	v_cndmask_b32_e32 v44, 0, v53, vcc
	v_sub_f32_e32 v18, v18, v44
	v_sub_f32_e32 v17, v17, v44
	v_exp_f32_e32 v44, v18
	v_mul_f32_e32 v18, 0x3fb8aa3b, v45
	v_cmp_neq_f32_e32 vcc, s65, v45
	v_cndmask_b32_e32 v18, 0, v18, vcc
	v_sub_f32_e32 v19, v19, v18
	v_sub_f32_e32 v18, v20, v18
	v_exp_f32_e32 v53, v18
	v_mul_f32_e32 v18, 0x3fb8aa3b, v46
	v_cmp_neq_f32_e32 vcc, s65, v46
	v_cndmask_b32_e32 v18, 0, v18, vcc
	v_exp_f32_e32 v45, v19
	v_sub_f32_e32 v19, v21, v18
	v_sub_f32_e32 v18, v22, v18
	v_exp_f32_e32 v54, v18
	v_mul_f32_e32 v18, 0x3fb8aa3b, v47
	v_cmp_neq_f32_e32 vcc, s65, v47
	v_cndmask_b32_e32 v18, 0, v18, vcc
	v_exp_f32_e32 v46, v19
	v_sub_f32_e32 v19, v23, v18
	v_sub_f32_e32 v18, v36, v18
	v_exp_f32_e32 v55, v18
	v_mul_f32_e32 v18, 0x3fb8aa3b, v40
	v_cmp_neq_f32_e32 vcc, s65, v40
	v_cndmask_b32_e32 v18, 0, v18, vcc
	v_readfirstlane_b32 s14, v65
	v_exp_f32_e32 v47, v19
	v_sub_f32_e32 v19, v37, v18
	v_sub_f32_e32 v18, v38, v18
	s_ashr_i32 s2, s14, 31
	v_exp_f32_e32 v38, v18
	v_mul_f32_e32 v18, 0x3fb8aa3b, v41
	v_cmp_neq_f32_e32 vcc, s65, v41
	s_lshr_b32 s2, s2, 30
	s_ashr_i32 s5, s54, 31
	v_cndmask_b32_e32 v18, 0, v18, vcc
	s_add_i32 s2, s14, s2
	s_lshr_b32 s5, s5, 28
	v_exp_f32_e32 v40, v19
	v_sub_f32_e32 v19, v39, v18
	v_sub_f32_e32 v18, v48, v18
	s_ashr_i32 s3, s2, 2
	s_and_b32 s2, s2, -4
	s_add_i32 s5, s54, s5
	v_exp_f32_e32 v41, v18
	v_mul_f32_e32 v18, 0x3fb8aa3b, v42
	v_cmp_neq_f32_e32 vcc, s65, v42
	s_sub_i32 s2, s14, s2
	s_ashr_i32 s5, s5, 4
	v_cndmask_b32_e32 v18, 0, v18, vcc
	s_add_i32 s15, s2, s5
	v_exp_f32_e32 v39, v19
	v_sub_f32_e32 v19, v49, v18
	v_sub_f32_e32 v18, v50, v18
	s_lshr_b32 s2, s15, 31
	v_exp_f32_e32 v48, v18
	v_mul_f32_e32 v18, 0x3fb8aa3b, v43
	v_cmp_neq_f32_e32 vcc, s65, v43
	s_add_i32 s2, s15, s2
	v_cndmask_b32_e32 v18, 0, v18, vcc
	s_ashr_i32 s5, s2, 1
	s_and_b32 s2, s2, 0xffffffe
	v_exp_f32_e32 v42, v19
	v_sub_f32_e32 v19, v51, v18
	v_sub_f32_e32 v18, v52, v18
	s_sub_i32 s2, s15, s2
	v_exp_f32_e32 v49, v18
	s_lshr_b32 s4, s6, 4
	s_lshl_b32 s3, s3, 1
	v_lshl_add_u32 v18, s2, 4, v195
	v_exp_f32_e32 v43, v19
	s_add_i32 s3, s3, s4
	v_ashrrev_i32_e32 v19, 31, v18
	v_add_co_u32_e32 v18, vcc, s56, v18
	v_mov_b32_e32 v20, s63
	s_ashr_i32 s4, s3, 1
	v_addc_co_u32_e32 v20, vcc, v20, v19, vcc
	v_mad_u64_u32 v[18:19], s[2:3], v18, s67, 0
	s_mul_hi_u32 s2, s4, 0xcd9e8d57
	s_xor_b32 s17, s43, s2
	v_xor_b32_e32 v20, s17, v20
	s_xor_b32 s2, s60, s5
	v_xor_b32_e32 v19, s2, v19
	s_add_i32 s18, s60, 0xbb67ae85
	v_mad_u64_u32 v[20:21], s[2:3], v20, s67, 0
	s_mul_i32 s6, s4, 0xcd9e8d57
	s_add_i32 s4, s43, 0x9e3779b9
	v_xor_b32_e32 v21, s18, v21
	v_mad_u64_u32 v[22:23], s[2:3], v19, s55, 0
	s_xor_b32 s19, s6, s4
	v_xor_b32_e32 v21, v21, v18
	v_xor_b32_e32 v19, s19, v23
	s_add_i32 s20, s43, 0x3c6ef372
	v_mad_u64_u32 v[36:37], s[2:3], v21, s55, 0
	s_add_i32 s21, s60, 0x76cf5d0a
	v_mad_u64_u32 v[18:19], s[2:3], v19, s67, 0
	v_xor_b32_e32 v21, s20, v37
	v_xor_b32_e32 v21, v21, v22
	v_xor_b32_e32 v19, s21, v19
	v_xor_b32_e32 v19, v19, v20
	s_add_i32 s23, s60, 0x32370b8f
	v_mad_u64_u32 v[20:21], s[2:3], v21, s67, 0
	s_add_i32 s22, s43, 0xdaa66d2b
	v_mad_u64_u32 v[22:23], s[2:3], v19, s55, 0
	v_xor_b32_e32 v21, s23, v21
	v_xor_b32_e32 v19, s22, v23
	;; [unrolled: 8-line block ×3, first 2 shown]
	v_xor_b32_e32 v19, s25, v19
	v_xor_b32_e32 v19, v19, v20
	s_add_i32 s26, s60, 0xa9066899
	v_mad_u64_u32 v[20:21], s[2:3], v21, s67, 0
	s_add_i32 s16, s43, 0xb54cda56
	s_add_i32 s43, s43, 0x1715609d
	v_mad_u64_u32 v[22:23], s[2:3], v19, s55, 0
	v_xor_b32_e32 v21, s26, v21
	v_xor_b32_e32 v19, s43, v23
	v_xor_b32_e32 v21, v21, v18
	v_xor_b32_e32 v19, v19, v36
	v_mad_u64_u32 v[36:37], s[2:3], v21, s55, 0
	v_mad_u64_u32 v[18:19], s[2:3], v19, s67, 0
	v_xor_b32_e32 v21, v37, v22
	s_add_i32 s27, s60, 0x646e171e
	v_xor_b32_e32 v21, s16, v21
	v_xor_b32_e32 v19, v19, v20
	v_cmp_ne_u32_e32 vcc, 0, v171
	v_xor_b32_e32 v19, s27, v19
	v_cndmask_b32_e32 v20, v21, v36, vcc
	v_cmp_eq_u32_e64 s[2:3], 2, v171
	v_cmp_eq_u32_e64 s[6:7], 1, v196
	v_exp_f32_e32 v17, v17
	v_cndmask_b32_e64 v20, v20, v19, s[2:3]
	v_cmp_eq_u32_e64 s[4:5], 3, v171
	v_cndmask_b32_e64 v21, v21, v36, s[6:7]
	v_cmp_eq_u32_e64 s[8:9], 2, v196
	v_cndmask_b32_e64 v20, v20, v18, s[4:5]
	v_cndmask_b32_e64 v19, v21, v19, s[8:9]
	v_cmp_eq_u32_e64 s[10:11], 3, v196
	v_cndmask_b32_e64 v18, v19, v18, s[10:11]
	v_and_b32_e32 v19, 0xff, v20
	v_cmp_lt_u16_sdwa s[12:13], s40, v19 src0_sel:BYTE_0 src1_sel:DWORD
	v_cndmask_b32_e64 v50, v17, -v17, s[12:13]
	v_lshrrev_b32_e32 v17, 8, v20
	v_and_b32_e32 v17, 0xff, v17
	v_cmp_lt_u16_sdwa s[12:13], s40, v17 src0_sel:BYTE_0 src1_sel:DWORD
	v_and_b32_sdwa v17, v20, s52 dst_sel:DWORD dst_unused:UNUSED_PAD src0_sel:WORD_1 src1_sel:DWORD
	v_cndmask_b32_e64 v45, v45, -v45, s[12:13]
	v_cmp_lt_u16_sdwa s[12:13], s40, v17 src0_sel:BYTE_0 src1_sel:DWORD
	v_lshrrev_b32_e32 v17, 24, v20
	v_cndmask_b32_e64 v46, v46, -v46, s[12:13]
	v_cmp_lt_u16_sdwa s[12:13], s40, v17 src0_sel:BYTE_0 src1_sel:DWORD
	v_and_b32_e32 v17, 0xff, v18
	v_cndmask_b32_e64 v47, v47, -v47, s[12:13]
	v_cmp_lt_u16_sdwa s[12:13], s40, v17 src0_sel:BYTE_0 src1_sel:DWORD
	v_lshrrev_b32_e32 v17, 8, v18
	v_and_b32_e32 v17, 0xff, v17
	v_cndmask_b32_e64 v51, v40, -v40, s[12:13]
	v_cmp_lt_u16_sdwa s[12:13], s40, v17 src0_sel:BYTE_0 src1_sel:DWORD
	v_and_b32_sdwa v17, v18, s52 dst_sel:DWORD dst_unused:UNUSED_PAD src0_sel:WORD_1 src1_sel:DWORD
	v_cndmask_b32_e64 v52, v39, -v39, s[12:13]
	v_cmp_lt_u16_sdwa s[12:13], s40, v17 src0_sel:BYTE_0 src1_sel:DWORD
	v_lshrrev_b32_e32 v17, 24, v18
	v_cndmask_b32_e64 v42, v42, -v42, s[12:13]
	v_cmp_lt_u16_sdwa s[12:13], s40, v17 src0_sel:BYTE_0 src1_sel:DWORD
	v_cndmask_b32_e64 v43, v43, -v43, s[12:13]
	s_add_i32 s12, s15, 4
	s_lshr_b32 s13, s12, 31
	s_add_i32 s13, s12, s13
	s_ashr_i32 s15, s13, 1
	s_and_b32 s13, s13, 0xffffffe
	s_sub_i32 s12, s12, s13
	v_lshl_add_u32 v17, s12, 4, v195
	v_ashrrev_i32_e32 v18, 31, v17
	v_add_co_u32_e64 v17, s[12:13], s56, v17
	v_mov_b32_e32 v19, s63
	v_addc_co_u32_e64 v20, s[12:13], v19, v18, s[12:13]
	v_mad_u64_u32 v[18:19], s[12:13], v17, s67, 0
	v_xor_b32_e32 v17, s17, v20
	s_xor_b32 s12, s60, s15
	v_xor_b32_e32 v19, s12, v19
	v_mad_u64_u32 v[20:21], s[12:13], v17, s67, 0
	v_mad_u64_u32 v[22:23], s[12:13], v19, s55, 0
	v_xor_b32_e32 v19, s18, v21
	v_xor_b32_e32 v21, v19, v18
	v_xor_b32_e32 v17, s19, v23
	v_mad_u64_u32 v[36:37], s[12:13], v21, s55, 0
	v_mad_u64_u32 v[18:19], s[12:13], v17, s67, 0
	v_xor_b32_e32 v17, s20, v37
	v_xor_b32_e32 v17, v17, v22
	v_xor_b32_e32 v19, s21, v19
	v_xor_b32_e32 v19, v19, v20
	v_mad_u64_u32 v[20:21], s[12:13], v17, s67, 0
	v_mad_u64_u32 v[22:23], s[12:13], v19, s55, 0
	v_xor_b32_e32 v19, s23, v21
	;; [unrolled: 6-line block ×5, first 2 shown]
	v_xor_b32_e32 v17, s16, v17
	v_xor_b32_e32 v19, v19, v20
	;; [unrolled: 1-line block ×3, first 2 shown]
	v_cndmask_b32_e32 v20, v17, v36, vcc
	v_cndmask_b32_e64 v20, v20, v19, s[2:3]
	v_cndmask_b32_e64 v17, v17, v36, s[6:7]
	;; [unrolled: 1-line block ×5, first 2 shown]
	v_and_b32_e32 v18, 0xff, v20
	v_cmp_lt_u16_sdwa s[2:3], s40, v18 src0_sel:BYTE_0 src1_sel:DWORD
	v_lshrrev_b32_e32 v18, 8, v20
	v_and_b32_e32 v18, 0xff, v18
	v_cndmask_b32_e64 v44, v44, -v44, s[2:3]
	v_cmp_lt_u16_sdwa s[2:3], s40, v18 src0_sel:BYTE_0 src1_sel:DWORD
	v_and_b32_sdwa v18, v20, s52 dst_sel:DWORD dst_unused:UNUSED_PAD src0_sel:WORD_1 src1_sel:DWORD
	v_cndmask_b32_e64 v53, v53, -v53, s[2:3]
	v_cmp_lt_u16_sdwa s[2:3], s40, v18 src0_sel:BYTE_0 src1_sel:DWORD
	v_lshrrev_b32_e32 v18, 24, v20
	v_cndmask_b32_e64 v54, v54, -v54, s[2:3]
	v_cmp_lt_u16_sdwa s[2:3], s40, v18 src0_sel:BYTE_0 src1_sel:DWORD
	v_and_b32_e32 v18, 0xff, v17
	v_cndmask_b32_e64 v55, v55, -v55, s[2:3]
	v_cmp_lt_u16_sdwa s[2:3], s40, v18 src0_sel:BYTE_0 src1_sel:DWORD
	v_lshrrev_b32_e32 v18, 8, v17
	v_and_b32_e32 v18, 0xff, v18
	v_cndmask_b32_e64 v56, v38, -v38, s[2:3]
	v_cmp_lt_u16_sdwa s[2:3], s40, v18 src0_sel:BYTE_0 src1_sel:DWORD
	v_and_b32_sdwa v18, v17, s52 dst_sel:DWORD dst_unused:UNUSED_PAD src0_sel:WORD_1 src1_sel:DWORD
	v_cndmask_b32_e64 v57, v41, -v41, s[2:3]
	v_cmp_lt_u16_sdwa s[2:3], s40, v18 src0_sel:BYTE_0 src1_sel:DWORD
	v_lshrrev_b32_e32 v17, 24, v17
	v_cndmask_b32_e64 v48, v48, -v48, s[2:3]
	v_cmp_lt_u16_sdwa s[2:3], s40, v17 src0_sel:BYTE_0 src1_sel:DWORD
	v_cndmask_b32_e64 v49, v49, -v49, s[2:3]
	v_max_f32_e32 v17, 0, v50
	v_max_f32_e32 v20, 0, v45
	;; [unrolled: 1-line block ×16, first 2 shown]
	;;#ASMSTART
	
             v_cmp_u_f32 s[2:3], v17, v17 
             v_bfe_u32 v18, v17, 16, 1 
             v_add3_u32 v18, v17, v18, v214 
             v_cndmask_b32 v17, v18, v215, s[2:3] 
             v_lshrrev_b32 v17, 16, v17 
             
	;;#ASMEND
	;;#ASMSTART
	
             v_cmp_u_f32 s[2:3], v20, v20 
             v_bfe_u32 v18, v20, 16, 1 
             v_add3_u32 v18, v20, v18, v214 
             v_cndmask_b32 v20, v18, v215, s[2:3] 
             v_lshrrev_b32 v20, 16, v20 
             
	;;#ASMEND
	;; [unrolled: 9-line block ×16, first 2 shown]
	ds_read_b32 v18, v186 offset:4096
	ds_read_b32 v19, v187 offset:4096
	v_perm_b32 v20, v20, v17, s62
	v_perm_b32 v21, v22, v21, s62
	;; [unrolled: 1-line block ×4, first 2 shown]
	s_waitcnt lgkmcnt(0)
	v_mfma_f32_16x16x16bf16_1k a[12:15], v[18:19], v[20:21], a[20:23]
	v_perm_b32 v36, v37, v36, s62
	v_perm_b32 v37, v59, v58, s62
	v_readlane_b32 s68, v255, 19
	v_readlane_b32 s69, v255, 20
	;; [unrolled: 1-line block ×4, first 2 shown]
	v_mfma_f32_16x16x16bf16_1k a[20:23], v[18:19], v[38:39], a[16:19]
	ds_read_b32 v18, v182 offset:4096
	ds_read_b32 v19, v183 offset:4096
	s_waitcnt lgkmcnt(0)
	v_mfma_f32_16x16x16bf16_1k a[4:7], v[18:19], v[38:39], a[4:7]
	ds_read_b32 v22, v188 offset:4096
	ds_read_b32 v23, v189 offset:4096
	s_waitcnt lgkmcnt(0)
	v_mfma_f32_16x16x16bf16_1k a[12:15], v[22:23], v[36:37], a[12:15]
	v_mfma_f32_16x16x16bf16_1k a[0:3], v[18:19], v[20:21], a[0:3]
	ds_read_b32 v20, v184 offset:4096
	ds_read_b32 v21, v185 offset:4096
	s_waitcnt lgkmcnt(0)
	v_mfma_f32_16x16x16bf16_1k a[16:19], v[20:21], v[36:37], a[0:3]
	v_perm_b32 v36, v61, v60, s62
	v_perm_b32 v37, v63, v62, s62
	s_nop 1
	v_mfma_f32_16x16x16bf16_1k a[4:7], v[20:21], v[36:37], a[4:7]
	s_nop 5
	v_accvgpr_read_b32 v18, a16
	v_accvgpr_read_b32 v17, a18
	; sched_group_barrier mask(0x00000008) size(1) SyncID(0)
	; sched_group_barrier mask(0x00000100) size(1) SyncID(0)
	;; [unrolled: 1-line block ×10, first 2 shown]
	v_mfma_f32_16x16x16bf16_1k a[0:3], v[22:23], v[36:37], a[20:23]
	v_accvgpr_read_b32 v36, a12
	v_accvgpr_read_b32 v23, a14
	; sched_group_barrier mask(0x00000008) size(1) SyncID(0)
	; sched_group_barrier mask(0x00000100) size(1) SyncID(0)
	;; [unrolled: 1-line block ×6, first 2 shown]
	v_accvgpr_read_b32 v22, a4
	v_accvgpr_read_b32 v21, a6
	s_nop 6
	v_accvgpr_read_b32 v20, a0
	v_accvgpr_read_b32 v19, a2
	; sched_barrier mask(0x00000000)
	v_mfma_f32_16x16x16bf16_1k a[20:23], v[90:91], v[4:5], 0
	ds_read_b32 v38, v184
	ds_read_b32 v39, v185
	;; [unrolled: 1-line block ×4, first 2 shown]
	; sched_group_barrier mask(0x00000008) size(1) SyncID(0)
	; sched_group_barrier mask(0x00000200) size(1) SyncID(0)
	v_mfma_f32_16x16x16bf16_1k a[20:23], v[88:89], v[6:7], a[20:23]
	; sched_group_barrier mask(0x00000008) size(1) SyncID(0)
	; sched_group_barrier mask(0x00000200) size(1) SyncID(0)
	v_mfma_f32_16x16x16bf16_1k a[24:27], v[90:91], v[0:1], 0
	; sched_group_barrier mask(0x00000008) size(1) SyncID(0)
	; sched_group_barrier mask(0x00000200) size(1) SyncID(0)
	s_nop 7
	s_nop 1
	v_accvgpr_read_b32 v37, a20
	v_accvgpr_read_b32 v58, a21
	v_mfma_f32_16x16x16bf16_1k a[24:27], v[88:89], v[2:3], a[24:27]
	v_accvgpr_read_b32 v59, a22
	v_accvgpr_read_b32 v60, a23
	; sched_group_barrier mask(0x00000008) size(1) SyncID(0)
	; sched_group_barrier mask(0x00000200) size(1) SyncID(0)
	v_mfma_f32_16x16x16bf16_1k a[28:31], v[84:85], v[4:5], 0
	ds_read_b32 v4, v182
	ds_read_b32 v5, v183
	; sched_group_barrier mask(0x00000008) size(1) SyncID(0)
	; sched_group_barrier mask(0x00000200) size(1) SyncID(0)
	s_nop 5
	v_accvgpr_read_b32 v61, a24
	v_accvgpr_read_b32 v62, a27
	v_mfma_f32_16x16x16bf16_1k a[28:31], v[86:87], v[6:7], a[28:31]
	ds_read_b32 v6, v188
	ds_read_b32 v7, v189
	; sched_group_barrier mask(0x00000008) size(1) SyncID(0)
	; sched_group_barrier mask(0x00000200) size(1) SyncID(0)
	v_mfma_f32_16x16x16bf16_1k a[20:23], v[84:85], v[0:1], 0
	v_accvgpr_read_b32 v0, a25
	v_accvgpr_read_b32 v1, a26
	; sched_group_barrier mask(0x00000008) size(1) SyncID(0)
	; sched_group_barrier mask(0x00000200) size(1) SyncID(0)
	s_nop 5
	v_accvgpr_read_b32 v63, a28
	v_accvgpr_read_b32 v84, a29
	v_mfma_f32_16x16x16bf16_1k a[20:23], v[86:87], v[2:3], a[20:23]
	v_accvgpr_read_b32 v85, a30
	v_accvgpr_read_b32 v88, a31
	; sched_group_barrier mask(0x00000008) size(1) SyncID(0)
	; sched_group_barrier mask(0x00000200) size(1) SyncID(0)
	s_nop 7
	s_nop 0
	v_accvgpr_read_b32 v2, a20
	v_accvgpr_read_b32 v3, a21
	;; [unrolled: 1-line block ×4, first 2 shown]
	; sched_barrier mask(0x00000000)
	v_cmp_nle_f32_e32 vcc, 0, v50
	v_sub_f32_e32 v37, v37, v12
	v_cndmask_b32_e32 v37, v37, v12, vcc
	v_mul_f32_e32 v37, v50, v37
	v_cmp_nle_f32_e32 vcc, 0, v44
	v_sub_f32_e32 v50, v61, v12
	v_cndmask_b32_e32 v12, v50, v12, vcc
	v_mul_f32_e32 v12, v44, v12
	v_cmp_nle_f32_e32 vcc, 0, v45
	v_sub_f32_e32 v44, v58, v13
	v_cndmask_b32_e32 v44, v44, v13, vcc
	v_cmp_nle_f32_e32 vcc, 0, v53
	v_sub_f32_e32 v0, v0, v13
	v_cndmask_b32_e32 v0, v0, v13, vcc
	v_mul_f32_e32 v13, v53, v0
	v_cmp_nle_f32_e32 vcc, 0, v46
	v_sub_f32_e32 v0, v59, v14
	v_cndmask_b32_e32 v0, v0, v14, vcc
	v_mul_f32_e32 v44, v45, v44
	v_mul_f32_e32 v45, v46, v0
	v_cmp_nle_f32_e32 vcc, 0, v54
	v_sub_f32_e32 v0, v1, v14
	v_cndmask_b32_e32 v0, v0, v14, vcc
	v_mul_f32_e32 v14, v54, v0
	v_cmp_nle_f32_e32 vcc, 0, v47
	v_sub_f32_e32 v0, v60, v15
	v_cndmask_b32_e32 v0, v0, v15, vcc
	;; [unrolled: 4-line block ×11, first 2 shown]
	v_mul_f32_e32 v49, v49, v0
	;;#ASMSTART
	
             v_cmp_u_f32 s[2:3], v37, v37 
             v_bfe_u32 v0, v37, 16, 1 
             v_add3_u32 v0, v37, v0, v214 
             v_cndmask_b32 v37, v0, v215, s[2:3] 
             v_lshrrev_b32 v37, 16, v37 
             
	;;#ASMEND
	;;#ASMSTART
	
             v_cmp_u_f32 s[2:3], v44, v44 
             v_bfe_u32 v0, v44, 16, 1 
             v_add3_u32 v0, v44, v0, v214 
             v_cndmask_b32 v44, v0, v215, s[2:3] 
             v_lshrrev_b32 v44, 16, v44 
             
	;;#ASMEND
	;; [unrolled: 9-line block ×16, first 2 shown]
	s_lshl_b32 s3, s14, 2
	v_accvgpr_write_b32 a20, v32
	s_and_b32 s3, s3, -16
	v_accvgpr_write_b32 a21, v33
	v_accvgpr_write_b32 a22, v34
	;; [unrolled: 1-line block ×3, first 2 shown]
	v_add_u32_e32 v33, s3, v191
	v_ashrrev_i32_e32 v34, 31, v33
	v_lshrrev_b32_e32 v34, 28, v34
	s_lshl_b32 s2, s14, 4
	v_add_u32_e32 v35, v33, v34
	v_and_or_b32 v32, s2, 48, v118
	v_and_b32_e32 v35, -16, v35
	v_lshrrev_b32_e32 v32, 3, v32
	v_sub_u32_e32 v35, v33, v35
	v_xor_b32_e32 v53, v35, v32
	v_lshl_or_b32 v54, v33, 7, v121
	v_lshl_add_u32 v54, v53, 3, v54
	v_perm_b32 v0, v44, v37, s62
	v_perm_b32 v1, v46, v45, s62
	v_lshlrev_b32_e32 v55, 1, v54
	s_waitcnt lgkmcnt(0)
	v_mfma_f32_16x16x16bf16_1k a[8:11], v[4:5], v[0:1], a[8:11]
	s_barrier
	ds_write_b16 v55, v37 offset:8448
	v_or_b32_e32 v37, 1, v33
	v_add_u32_e32 v56, v37, v34
	v_and_b32_e32 v56, -16, v56
	v_sub_u32_e32 v37, v37, v56
	v_xor_b32_e32 v56, v37, v32
	v_sub_u32_e32 v53, v56, v53
	v_lshlrev_b32_e32 v57, 4, v53
	s_movk_i32 s3, 0x2100
	v_add3_u32 v55, v55, s3, v57
	ds_write_b16 v55, v44 offset:256
	v_mfma_f32_16x16x16bf16_1k a[20:23], v[40:41], v[0:1], a[20:23]
	v_accvgpr_write_b32 a24, v28
	v_or_b32_e32 v0, 2, v33
	v_accvgpr_write_b32 a25, v29
	v_accvgpr_write_b32 a26, v30
	;; [unrolled: 1-line block ×3, first 2 shown]
	v_add_u32_e32 v1, v0, v34
	v_or_b32_e32 v29, 3, v33
	v_and_b32_e32 v1, -16, v1
	v_add_u32_e32 v30, v29, v34
	v_sub_u32_e32 v0, v0, v1
	v_and_b32_e32 v30, -16, v30
	v_xor_b32_e32 v1, v0, v32
	v_sub_u32_e32 v29, v29, v30
	v_sub_u32_e32 v28, v1, v56
	v_xor_b32_e32 v30, v29, v32
	v_sub_u32_e32 v1, v30, v1
	v_lshlrev_b32_e32 v31, 4, v28
	v_add3_u32 v31, v55, s42, v31
	v_lshlrev_b32_e32 v34, 4, v1
	v_perm_b32 v2, v13, v12, s62
	v_perm_b32 v3, v15, v14, s62
	ds_write_b16 v31, v45 offset:256
	v_add3_u32 v31, v31, s42, v34
	ds_write_b16 v31, v46 offset:256
	v_mfma_f32_16x16x16bf16_1k a[24:27], v[4:5], v[2:3], a[24:27]
	v_or_b32_e32 v4, 8, v32
	v_accvgpr_write_b32 a31, v27
	v_xor_b32_e32 v5, v4, v35
	v_accvgpr_write_b32 a30, v26
	v_accvgpr_write_b32 a29, v25
	v_accvgpr_write_b32 a28, v24
	v_sub_u32_e32 v24, v5, v30
	v_lshl_add_u32 v24, v24, 3, v222
	v_xor_b32_e32 v25, v37, v4
	v_lshlrev_b32_e32 v26, 1, v24
	v_sub_u32_e32 v5, v25, v5
	v_add3_u32 v26, v31, s42, v26
	ds_write_b16 v26, v12
	v_lshl_add_u32 v12, v5, 4, v26
	v_xor_b32_e32 v0, v0, v4
	ds_write_b16 v12, v13 offset:256
	v_mfma_f32_16x16x16bf16_1k a[28:31], v[40:41], v[2:3], a[28:31]
	v_sub_u32_e32 v2, v0, v25
	v_xor_b32_e32 v3, v29, v4
	v_sub_u32_e32 v0, v3, v0
	v_lshlrev_b32_e32 v13, 4, v2
	v_add3_u32 v12, v12, s42, v13
	v_lshlrev_b32_e32 v13, 4, v0
	ds_write_b16 v12, v14 offset:256
	v_add3_u32 v12, v12, s42, v13
	ds_write_b16 v12, v15 offset:256
	v_add_u32_e32 v15, 16, v33
	v_ashrrev_i32_e32 v25, 31, v15
	v_add_u32_e32 v26, 17, v33
	v_lshrrev_b32_e32 v25, 28, v25
	v_ashrrev_i32_e32 v27, 31, v26
	v_add_u32_e32 v25, v15, v25
	v_lshrrev_b32_e32 v27, 28, v27
	v_and_b32_e32 v25, -16, v25
	v_add_u32_e32 v27, v26, v27
	v_sub_u32_e32 v15, v15, v25
	v_and_b32_e32 v27, -16, v27
	v_xor_b32_e32 v25, v15, v32
	v_sub_u32_e32 v26, v26, v27
	v_sub_u32_e32 v3, v25, v3
	v_xor_b32_e32 v27, v26, v32
	v_sub_u32_e32 v25, v27, v25
	v_lshlrev_b32_e32 v29, 4, v3
	v_perm_b32 v8, v51, v47, s62
	v_perm_b32 v9, v43, v42, s62
	v_add3_u32 v12, v12, s42, v29
	v_lshlrev_b32_e32 v29, 4, v25
	s_movk_i32 s3, 0xd00
	v_mfma_f32_16x16x16bf16_1k a[8:11], v[38:39], v[8:9], a[8:11]
	ds_write_b16 v12, v47 offset:3328
	v_add3_u32 v12, v12, s3, v29
	ds_write_b16 v12, v51 offset:256
	v_add_u32_e32 v30, 19, v33
	v_xor_b32_e32 v15, v15, v4
	v_xor_b32_e32 v26, v26, v4
	v_perm_b32 v10, v52, v50, s62
	v_mfma_f32_16x16x16bf16_1k a[20:23], v[6:7], v[8:9], a[20:23]
	v_add_u32_e32 v8, 18, v33
	v_ashrrev_i32_e32 v9, 31, v8
	v_lshrrev_b32_e32 v9, 28, v9
	v_ashrrev_i32_e32 v33, 31, v30
	v_add_u32_e32 v9, v8, v9
	v_lshrrev_b32_e32 v33, 28, v33
	v_and_b32_e32 v9, -16, v9
	v_add_u32_e32 v33, v30, v33
	v_sub_u32_e32 v8, v8, v9
	v_and_b32_e32 v33, -16, v33
	v_xor_b32_e32 v9, v8, v32
	v_sub_u32_e32 v30, v30, v33
	v_sub_u32_e32 v27, v9, v27
	v_xor_b32_e32 v32, v30, v32
	v_sub_u32_e32 v9, v32, v9
	v_lshlrev_b32_e32 v33, 4, v27
	v_sub_u32_e32 v32, v15, v32
	v_add3_u32 v12, v12, s42, v33
	v_lshlrev_b32_e32 v33, 4, v9
	v_lshl_add_u32 v32, v32, 3, v222
	ds_write_b16 v12, v42 offset:256
	v_add3_u32 v12, v12, s42, v33
	v_lshlrev_b32_e32 v34, 1, v32
	v_perm_b32 v11, v49, v48, s62
	ds_write_b16 v12, v43 offset:256
	v_sub_u32_e32 v15, v26, v15
	v_add3_u32 v12, v12, s42, v34
	v_mfma_f32_16x16x16bf16_1k a[24:27], v[38:39], v[10:11], a[24:27]
	ds_write_b16 v12, v50
	v_lshl_add_u32 v12, v15, 4, v12
	ds_write_b16 v12, v52 offset:256
	v_lshlrev_b32_e32 v1, 3, v1
	v_lshlrev_b32_e32 v5, 3, v5
	;; [unrolled: 1-line block ×4, first 2 shown]
	v_mfma_f32_16x16x16bf16_1k a[28:31], v[6:7], v[10:11], a[28:31]
	v_lshl_add_u32 v6, v53, 3, v54
	v_lshlrev_b32_e32 v7, 3, v28
	v_add3_u32 v1, v6, v7, v1
	v_add3_u32 v1, v1, v24, v5
	;; [unrolled: 1-line block ×3, first 2 shown]
	v_lshlrev_b32_e32 v1, 3, v3
	v_lshlrev_b32_e32 v2, 3, v25
	v_add3_u32 v0, v0, v1, v2
	v_lshlrev_b32_e32 v1, 3, v27
	v_lshlrev_b32_e32 v2, 3, v9
	v_add3_u32 v0, v0, v1, v2
	v_lshlrev_b32_e32 v1, 3, v15
	v_add3_u32 v0, v0, v32, v1
	v_xor_b32_e32 v1, v8, v4
	v_sub_u32_e32 v2, v1, v26
	v_lshlrev_b32_e32 v3, 3, v2
	v_lshlrev_b32_e32 v2, 4, v2
	v_add3_u32 v2, v12, s42, v2
	ds_write_b16 v2, v48 offset:256
	v_xor_b32_e32 v2, v30, v4
	v_add_lshl_u32 v0, v0, v3, 1
	v_sub_u32_e32 v1, v2, v1
	v_lshlrev_b32_e32 v8, 1, v223
	v_lshl_add_u32 v0, v1, 4, v0
	v_add_u32_e32 v4, v8, v198
	ds_write_b16 v0, v49 offset:14848
	s_waitcnt lgkmcnt(0)
	s_barrier
	ds_read_b128 v[0:3], v8 offset:8448
	ds_read_b128 v[4:7], v4 offset:8448
	v_accvgpr_read_b32 v13, a8
	v_accvgpr_read_b32 v14, a10
	;; [unrolled: 1-line block ×12, first 2 shown]
	v_add_u32_e32 v26, v223, v199
	v_accvgpr_read_b32 v40, a28
	v_accvgpr_read_b32 v41, a30
	;; [unrolled: 1-line block ×12, first 2 shown]
	; sched_group_barrier mask(0x00000008) size(1) SyncID(0)
	; sched_group_barrier mask(0x00000200) size(2) SyncID(0)
	;; [unrolled: 1-line block ×16, first 2 shown]
	; sched_barrier mask(0x00000000)
	s_waitcnt lgkmcnt(1)
	v_mfma_f32_16x16x16bf16_1k a[0:3], v[0:1], v[76:77], 0
	v_lshl_add_u32 v0, v199, 1, v8
	ds_read_b128 v[8:11], v0 offset:8448
	v_lshl_add_u32 v0, v26, 1, v202
	; sched_group_barrier mask(0x00000008) size(1) SyncID(0)
	; sched_group_barrier mask(0x00000100) size(1) SyncID(0)
	v_mfma_f32_16x16x16bf16_1k a[0:3], v[2:3], v[74:75], a[0:3]
	ds_read_b128 v[0:3], v0
	; sched_group_barrier mask(0x00000008) size(1) SyncID(0)
	; sched_group_barrier mask(0x00000100) size(1) SyncID(0)
	s_waitcnt lgkmcnt(2)
	v_mfma_f32_16x16x16bf16_1k a[0:3], v[4:5], v[70:71], a[0:3]
	; sched_group_barrier mask(0x00000008) size(1) SyncID(0)
	; sched_group_barrier mask(0x00000100) size(1) SyncID(0)
	v_mfma_f32_16x16x16bf16_1k a[0:3], v[6:7], v[78:79], a[0:3]
	; sched_group_barrier mask(0x00000008) size(1) SyncID(0)
	; sched_group_barrier mask(0x00000100) size(1) SyncID(0)
	s_waitcnt lgkmcnt(1)
	v_mfma_f32_16x16x16bf16_1k a[0:3], v[8:9], v[68:69], a[0:3]
	; sched_group_barrier mask(0x00000008) size(1) SyncID(0)
	; sched_group_barrier mask(0x00000100) size(1) SyncID(0)
	v_mfma_f32_16x16x16bf16_1k a[0:3], v[10:11], v[72:73], a[0:3]
	; sched_group_barrier mask(0x00000008) size(1) SyncID(0)
	; sched_group_barrier mask(0x00000100) size(1) SyncID(0)
	s_waitcnt lgkmcnt(0)
	v_mfma_f32_16x16x16bf16_1k a[0:3], v[0:1], v[80:81], a[0:3]
	; sched_group_barrier mask(0x00000008) size(1) SyncID(0)
	; sched_group_barrier mask(0x00000100) size(1) SyncID(0)
	v_mfma_f32_16x16x16bf16_1k a[0:3], v[2:3], v[82:83], a[0:3]
	; sched_group_barrier mask(0x00000008) size(1) SyncID(0)
	; sched_group_barrier mask(0x00000100) size(1) SyncID(0)
	s_nop 7
	s_nop 2
	v_accvgpr_read_b32 v0, a0
	v_accvgpr_read_b32 v1, a1
	;; [unrolled: 1-line block ×4, first 2 shown]
	; sched_barrier mask(0x00000000)
	s_lshl_b32 s3, s14, 3
	s_and_b32 s3, s3, -16
	v_mul_f32_e32 v4, s59, v0
	v_mul_f32_e32 v5, s59, v1
	v_add_u32_e32 v1, s3, v16
	v_and_or_b32 v0, s2, 16, v118
	v_mad_u64_u32 v[0:1], s[2:3], v1, s49, v[0:1]
	s_mov_b32 s79, s75
	v_lshlrev_b32_e32 v1, 2, v0
	v_add_u32_e32 v0, s49, v0
	buffer_atomic_add_f32 v4, v1, s[76:79], 0 offen
	v_lshlrev_b32_e32 v1, 2, v0
	v_add_u32_e32 v0, s49, v0
	v_mul_f32_e32 v2, s59, v2
	buffer_atomic_add_f32 v5, v1, s[76:79], 0 offen
	v_lshlrev_b32_e32 v1, 2, v0
	v_mul_f32_e32 v3, s59, v3
	buffer_atomic_add_f32 v2, v1, s[76:79], 0 offen
	v_add_lshl_u32 v0, v0, s49, 2
	buffer_atomic_add_f32 v3, v0, s[76:79], 0 offen
	v_readlane_b32 s12, v255, 11
	v_mul_f32_e32 v28, s59, v13
	v_mul_f32_e32 v30, s59, v15
	;; [unrolled: 1-line block ×32, first 2 shown]
	v_readlane_b32 s13, v255, 12
	v_readlane_b32 s14, v255, 13
	;; [unrolled: 1-line block ×8, first 2 shown]
	s_mov_b32 s76, s88
	s_mov_b32 s23, s28
	s_branch .LBB1_3
.LBB1_25:
	s_endpgm
	.section	.rodata,"a",@progbits
	.p2align	6, 0x0
	.amdhsa_kernel _ZN7ck_tile6kentryINS_6gfx9_tELi1ENS_19FmhaBwdDQDKDVKernelINS_26BlockFmhaBwdDQDKDVPipelineINS_27BlockFmhaBwdPipelineProblemIttttfffthttttttNS_16TileFmhaBwdShapeINS_8sequenceIJLi32ELi128ELi32ELi32ELi32ELi32ELi64ELi32ELi32EEEENS6_IJLi1ELi4ELi1EEEENS6_IJLi16ELi16ELi32EEEENS6_IJLi4ELi1ELi1EEEENS6_IJLi16ELi16ELi16EEEES8_S9_SA_SB_NS6_IJLi2ELi2ELi1EEEES9_Li0EEELb0ELb1ENS_30SimplifiedGenericAttentionMaskILb1EEENS_15BlockDropoutBwdILb1ELb0ELb0EEELb0ENS_17TileFmhaBwdTraitsILi0ELi0ELNS_22BlockAttentionBiasEnumE2ELb0ELi1EEEEEvEENS_17Default2DEpilogueINS_24Default2DEpilogueProblemIftLb0ELb0ELb1EEEvEESQ_SQ_EEJNSR_21FmhaBwdBatchModeKargsEEEENSt9enable_ifIXnt26kattr_no_packed_fp32_ops_vIT_EEvE4typeEDpT2_
		.amdhsa_group_segment_fixed_size 16640
		.amdhsa_private_segment_fixed_size 0
		.amdhsa_kernarg_size 560
		.amdhsa_user_sgpr_count 6
		.amdhsa_user_sgpr_private_segment_buffer 1
		.amdhsa_user_sgpr_dispatch_ptr 0
		.amdhsa_user_sgpr_queue_ptr 0
		.amdhsa_user_sgpr_kernarg_segment_ptr 1
		.amdhsa_user_sgpr_dispatch_id 0
		.amdhsa_user_sgpr_flat_scratch_init 0
		.amdhsa_user_sgpr_kernarg_preload_length 0
		.amdhsa_user_sgpr_kernarg_preload_offset 0
		.amdhsa_user_sgpr_private_segment_size 0
		.amdhsa_uses_dynamic_stack 0
		.amdhsa_system_sgpr_private_segment_wavefront_offset 0
		.amdhsa_system_sgpr_workgroup_id_x 1
		.amdhsa_system_sgpr_workgroup_id_y 0
		.amdhsa_system_sgpr_workgroup_id_z 0
		.amdhsa_system_sgpr_workgroup_info 0
		.amdhsa_system_vgpr_workitem_id 0
		.amdhsa_next_free_vgpr 327
		.amdhsa_next_free_sgpr 96
		.amdhsa_accum_offset 256
		.amdhsa_reserve_vcc 1
		.amdhsa_reserve_flat_scratch 0
		.amdhsa_float_round_mode_32 0
		.amdhsa_float_round_mode_16_64 0
		.amdhsa_float_denorm_mode_32 0
		.amdhsa_float_denorm_mode_16_64 3
		.amdhsa_dx10_clamp 1
		.amdhsa_ieee_mode 1
		.amdhsa_fp16_overflow 0
		.amdhsa_tg_split 0
		.amdhsa_exception_fp_ieee_invalid_op 0
		.amdhsa_exception_fp_denorm_src 0
		.amdhsa_exception_fp_ieee_div_zero 0
		.amdhsa_exception_fp_ieee_overflow 0
		.amdhsa_exception_fp_ieee_underflow 0
		.amdhsa_exception_fp_ieee_inexact 0
		.amdhsa_exception_int_div_zero 0
	.end_amdhsa_kernel
	.section	.text._ZN7ck_tile6kentryINS_6gfx9_tELi1ENS_19FmhaBwdDQDKDVKernelINS_26BlockFmhaBwdDQDKDVPipelineINS_27BlockFmhaBwdPipelineProblemIttttfffthttttttNS_16TileFmhaBwdShapeINS_8sequenceIJLi32ELi128ELi32ELi32ELi32ELi32ELi64ELi32ELi32EEEENS6_IJLi1ELi4ELi1EEEENS6_IJLi16ELi16ELi32EEEENS6_IJLi4ELi1ELi1EEEENS6_IJLi16ELi16ELi16EEEES8_S9_SA_SB_NS6_IJLi2ELi2ELi1EEEES9_Li0EEELb0ELb1ENS_30SimplifiedGenericAttentionMaskILb1EEENS_15BlockDropoutBwdILb1ELb0ELb0EEELb0ENS_17TileFmhaBwdTraitsILi0ELi0ELNS_22BlockAttentionBiasEnumE2ELb0ELi1EEEEEvEENS_17Default2DEpilogueINS_24Default2DEpilogueProblemIftLb0ELb0ELb1EEEvEESQ_SQ_EEJNSR_21FmhaBwdBatchModeKargsEEEENSt9enable_ifIXnt26kattr_no_packed_fp32_ops_vIT_EEvE4typeEDpT2_,"axG",@progbits,_ZN7ck_tile6kentryINS_6gfx9_tELi1ENS_19FmhaBwdDQDKDVKernelINS_26BlockFmhaBwdDQDKDVPipelineINS_27BlockFmhaBwdPipelineProblemIttttfffthttttttNS_16TileFmhaBwdShapeINS_8sequenceIJLi32ELi128ELi32ELi32ELi32ELi32ELi64ELi32ELi32EEEENS6_IJLi1ELi4ELi1EEEENS6_IJLi16ELi16ELi32EEEENS6_IJLi4ELi1ELi1EEEENS6_IJLi16ELi16ELi16EEEES8_S9_SA_SB_NS6_IJLi2ELi2ELi1EEEES9_Li0EEELb0ELb1ENS_30SimplifiedGenericAttentionMaskILb1EEENS_15BlockDropoutBwdILb1ELb0ELb0EEELb0ENS_17TileFmhaBwdTraitsILi0ELi0ELNS_22BlockAttentionBiasEnumE2ELb0ELi1EEEEEvEENS_17Default2DEpilogueINS_24Default2DEpilogueProblemIftLb0ELb0ELb1EEEvEESQ_SQ_EEJNSR_21FmhaBwdBatchModeKargsEEEENSt9enable_ifIXnt26kattr_no_packed_fp32_ops_vIT_EEvE4typeEDpT2_,comdat
.Lfunc_end1:
	.size	_ZN7ck_tile6kentryINS_6gfx9_tELi1ENS_19FmhaBwdDQDKDVKernelINS_26BlockFmhaBwdDQDKDVPipelineINS_27BlockFmhaBwdPipelineProblemIttttfffthttttttNS_16TileFmhaBwdShapeINS_8sequenceIJLi32ELi128ELi32ELi32ELi32ELi32ELi64ELi32ELi32EEEENS6_IJLi1ELi4ELi1EEEENS6_IJLi16ELi16ELi32EEEENS6_IJLi4ELi1ELi1EEEENS6_IJLi16ELi16ELi16EEEES8_S9_SA_SB_NS6_IJLi2ELi2ELi1EEEES9_Li0EEELb0ELb1ENS_30SimplifiedGenericAttentionMaskILb1EEENS_15BlockDropoutBwdILb1ELb0ELb0EEELb0ENS_17TileFmhaBwdTraitsILi0ELi0ELNS_22BlockAttentionBiasEnumE2ELb0ELi1EEEEEvEENS_17Default2DEpilogueINS_24Default2DEpilogueProblemIftLb0ELb0ELb1EEEvEESQ_SQ_EEJNSR_21FmhaBwdBatchModeKargsEEEENSt9enable_ifIXnt26kattr_no_packed_fp32_ops_vIT_EEvE4typeEDpT2_, .Lfunc_end1-_ZN7ck_tile6kentryINS_6gfx9_tELi1ENS_19FmhaBwdDQDKDVKernelINS_26BlockFmhaBwdDQDKDVPipelineINS_27BlockFmhaBwdPipelineProblemIttttfffthttttttNS_16TileFmhaBwdShapeINS_8sequenceIJLi32ELi128ELi32ELi32ELi32ELi32ELi64ELi32ELi32EEEENS6_IJLi1ELi4ELi1EEEENS6_IJLi16ELi16ELi32EEEENS6_IJLi4ELi1ELi1EEEENS6_IJLi16ELi16ELi16EEEES8_S9_SA_SB_NS6_IJLi2ELi2ELi1EEEES9_Li0EEELb0ELb1ENS_30SimplifiedGenericAttentionMaskILb1EEENS_15BlockDropoutBwdILb1ELb0ELb0EEELb0ENS_17TileFmhaBwdTraitsILi0ELi0ELNS_22BlockAttentionBiasEnumE2ELb0ELi1EEEEEvEENS_17Default2DEpilogueINS_24Default2DEpilogueProblemIftLb0ELb0ELb1EEEvEESQ_SQ_EEJNSR_21FmhaBwdBatchModeKargsEEEENSt9enable_ifIXnt26kattr_no_packed_fp32_ops_vIT_EEvE4typeEDpT2_
                                        ; -- End function
	.section	.AMDGPU.csdata,"",@progbits
; Kernel info:
; codeLenInByte = 26440
; NumSgprs: 100
; NumVgprs: 256
; NumAgprs: 71
; TotalNumVgprs: 327
; ScratchSize: 0
; MemoryBound: 0
; FloatMode: 192
; IeeeMode: 1
; LDSByteSize: 16640 bytes/workgroup (compile time only)
; SGPRBlocks: 12
; VGPRBlocks: 40
; NumSGPRsForWavesPerEU: 100
; NumVGPRsForWavesPerEU: 327
; AccumOffset: 256
; Occupancy: 1
; WaveLimiterHint : 0
; COMPUTE_PGM_RSRC2:SCRATCH_EN: 0
; COMPUTE_PGM_RSRC2:USER_SGPR: 6
; COMPUTE_PGM_RSRC2:TRAP_HANDLER: 0
; COMPUTE_PGM_RSRC2:TGID_X_EN: 1
; COMPUTE_PGM_RSRC2:TGID_Y_EN: 0
; COMPUTE_PGM_RSRC2:TGID_Z_EN: 0
; COMPUTE_PGM_RSRC2:TIDIG_COMP_CNT: 0
; COMPUTE_PGM_RSRC3_GFX90A:ACCUM_OFFSET: 63
; COMPUTE_PGM_RSRC3_GFX90A:TG_SPLIT: 0
	.text
	.p2alignl 6, 3212836864
	.fill 256, 4, 3212836864
	.type	__hip_cuid_50951b1a9125f03c,@object ; @__hip_cuid_50951b1a9125f03c
	.section	.bss,"aw",@nobits
	.globl	__hip_cuid_50951b1a9125f03c
__hip_cuid_50951b1a9125f03c:
	.byte	0                               ; 0x0
	.size	__hip_cuid_50951b1a9125f03c, 1

	.ident	"AMD clang version 19.0.0git (https://github.com/RadeonOpenCompute/llvm-project roc-6.4.0 25133 c7fe45cf4b819c5991fe208aaa96edf142730f1d)"
	.section	".note.GNU-stack","",@progbits
	.addrsig
	.addrsig_sym __hip_cuid_50951b1a9125f03c
	.amdgpu_metadata
---
amdhsa.kernels:
  - .agpr_count:     0
    .args:           []
    .group_segment_fixed_size: 0
    .kernarg_segment_align: 4
    .kernarg_segment_size: 0
    .language:       OpenCL C
    .language_version:
      - 2
      - 0
    .max_flat_workgroup_size: 1024
    .name:           _ZN7ck_tileL11flush_cacheEv
    .private_segment_fixed_size: 0
    .sgpr_count:     4
    .sgpr_spill_count: 0
    .symbol:         _ZN7ck_tileL11flush_cacheEv.kd
    .uses_dynamic_stack: false
    .vgpr_count:     0
    .vgpr_spill_count: 0
    .wavefront_size: 64
  - .agpr_count:     71
    .args:
      - .offset:         0
        .size:           304
        .value_kind:     by_value
      - .offset:         304
        .size:           4
        .value_kind:     hidden_block_count_x
      - .offset:         308
        .size:           4
        .value_kind:     hidden_block_count_y
      - .offset:         312
        .size:           4
        .value_kind:     hidden_block_count_z
      - .offset:         316
        .size:           2
        .value_kind:     hidden_group_size_x
      - .offset:         318
        .size:           2
        .value_kind:     hidden_group_size_y
      - .offset:         320
        .size:           2
        .value_kind:     hidden_group_size_z
      - .offset:         322
        .size:           2
        .value_kind:     hidden_remainder_x
      - .offset:         324
        .size:           2
        .value_kind:     hidden_remainder_y
      - .offset:         326
        .size:           2
        .value_kind:     hidden_remainder_z
      - .offset:         344
        .size:           8
        .value_kind:     hidden_global_offset_x
      - .offset:         352
        .size:           8
        .value_kind:     hidden_global_offset_y
      - .offset:         360
        .size:           8
        .value_kind:     hidden_global_offset_z
      - .offset:         368
        .size:           2
        .value_kind:     hidden_grid_dims
    .group_segment_fixed_size: 16640
    .kernarg_segment_align: 8
    .kernarg_segment_size: 560
    .language:       OpenCL C
    .language_version:
      - 2
      - 0
    .max_flat_workgroup_size: 256
    .name:           _ZN7ck_tile6kentryINS_6gfx9_tELi1ENS_19FmhaBwdDQDKDVKernelINS_26BlockFmhaBwdDQDKDVPipelineINS_27BlockFmhaBwdPipelineProblemIttttfffthttttttNS_16TileFmhaBwdShapeINS_8sequenceIJLi32ELi128ELi32ELi32ELi32ELi32ELi64ELi32ELi32EEEENS6_IJLi1ELi4ELi1EEEENS6_IJLi16ELi16ELi32EEEENS6_IJLi4ELi1ELi1EEEENS6_IJLi16ELi16ELi16EEEES8_S9_SA_SB_NS6_IJLi2ELi2ELi1EEEES9_Li0EEELb0ELb1ENS_30SimplifiedGenericAttentionMaskILb1EEENS_15BlockDropoutBwdILb1ELb0ELb0EEELb0ENS_17TileFmhaBwdTraitsILi0ELi0ELNS_22BlockAttentionBiasEnumE2ELb0ELi1EEEEEvEENS_17Default2DEpilogueINS_24Default2DEpilogueProblemIftLb0ELb0ELb1EEEvEESQ_SQ_EEJNSR_21FmhaBwdBatchModeKargsEEEENSt9enable_ifIXnt26kattr_no_packed_fp32_ops_vIT_EEvE4typeEDpT2_
    .private_segment_fixed_size: 0
    .sgpr_count:     100
    .sgpr_spill_count: 112
    .symbol:         _ZN7ck_tile6kentryINS_6gfx9_tELi1ENS_19FmhaBwdDQDKDVKernelINS_26BlockFmhaBwdDQDKDVPipelineINS_27BlockFmhaBwdPipelineProblemIttttfffthttttttNS_16TileFmhaBwdShapeINS_8sequenceIJLi32ELi128ELi32ELi32ELi32ELi32ELi64ELi32ELi32EEEENS6_IJLi1ELi4ELi1EEEENS6_IJLi16ELi16ELi32EEEENS6_IJLi4ELi1ELi1EEEENS6_IJLi16ELi16ELi16EEEES8_S9_SA_SB_NS6_IJLi2ELi2ELi1EEEES9_Li0EEELb0ELb1ENS_30SimplifiedGenericAttentionMaskILb1EEENS_15BlockDropoutBwdILb1ELb0ELb0EEELb0ENS_17TileFmhaBwdTraitsILi0ELi0ELNS_22BlockAttentionBiasEnumE2ELb0ELi1EEEEEvEENS_17Default2DEpilogueINS_24Default2DEpilogueProblemIftLb0ELb0ELb1EEEvEESQ_SQ_EEJNSR_21FmhaBwdBatchModeKargsEEEENSt9enable_ifIXnt26kattr_no_packed_fp32_ops_vIT_EEvE4typeEDpT2_.kd
    .uses_dynamic_stack: false
    .vgpr_count:     327
    .vgpr_spill_count: 0
    .wavefront_size: 64
amdhsa.target:   amdgcn-amd-amdhsa--gfx90a
amdhsa.version:
  - 1
  - 2
...

	.end_amdgpu_metadata
